;; amdgpu-corpus repo=ROCm/rocFFT kind=compiled arch=gfx950 opt=O3
	.text
	.amdgcn_target "amdgcn-amd-amdhsa--gfx950"
	.amdhsa_code_object_version 6
	.protected	bluestein_single_fwd_len1100_dim1_half_op_CI_CI ; -- Begin function bluestein_single_fwd_len1100_dim1_half_op_CI_CI
	.globl	bluestein_single_fwd_len1100_dim1_half_op_CI_CI
	.p2align	8
	.type	bluestein_single_fwd_len1100_dim1_half_op_CI_CI,@function
bluestein_single_fwd_len1100_dim1_half_op_CI_CI: ; @bluestein_single_fwd_len1100_dim1_half_op_CI_CI
; %bb.0:
	s_load_dwordx4 s[12:15], s[0:1], 0x28
	v_mul_u32_u24_e32 v1, 0x254, v0
	v_mov_b32_e32 v25, 0
	v_add_u32_sdwa v26, s2, v1 dst_sel:DWORD dst_unused:UNUSED_PAD src0_sel:DWORD src1_sel:WORD_1
	v_mov_b32_e32 v27, v25
	s_waitcnt lgkmcnt(0)
	v_cmp_gt_u64_e32 vcc, s[12:13], v[26:27]
	s_and_saveexec_b64 s[2:3], vcc
	s_cbranch_execz .LBB0_10
; %bb.1:
	s_load_dwordx4 s[4:7], s[0:1], 0x18
	s_load_dwordx4 s[8:11], s[0:1], 0x0
	v_mov_b32_e32 v2, s14
	v_mov_b32_e32 v3, s15
	s_movk_i32 s2, 0x6e
	s_waitcnt lgkmcnt(0)
	s_load_dwordx4 s[12:15], s[4:5], 0x0
	v_mul_lo_u16_sdwa v1, v1, s2 dst_sel:DWORD dst_unused:UNUSED_PAD src0_sel:WORD_1 src1_sel:DWORD
	v_sub_u16_e32 v24, v0, v1
	v_lshlrev_b32_e32 v49, 2, v24
	global_load_dword v48, v49, s[8:9]
	global_load_dword v47, v49, s[8:9] offset:2200
	s_waitcnt lgkmcnt(0)
	v_mad_u64_u32 v[0:1], s[2:3], s14, v26, 0
	v_mov_b32_e32 v4, v1
	v_mad_u64_u32 v[4:5], s[2:3], s15, v26, v[4:5]
	v_mov_b32_e32 v1, v4
	;; [unrolled: 2-line block ×4, first 2 shown]
	v_lshl_add_u64 v[0:1], v[0:1], 2, v[2:3]
	v_lshl_add_u64 v[0:1], v[4:5], 2, v[0:1]
	v_mov_b32_e32 v3, 0x898
	global_load_dword v2, v[0:1], off
	v_mad_u64_u32 v[0:1], s[2:3], s12, v3, v[0:1]
	s_mul_i32 s4, s13, 0x898
	v_add_u32_e32 v1, s4, v1
	v_mov_b32_e32 v4, 0xfffff920
	global_load_dword v5, v[0:1], off
	v_mad_u64_u32 v[0:1], s[2:3], s12, v4, v[0:1]
	s_mul_i32 s2, s13, 0xfffff920
	s_sub_i32 s5, s2, s12
	v_add_u32_e32 v1, s5, v1
	global_load_dword v6, v[0:1], off
	global_load_dword v46, v49, s[8:9] offset:440
	v_mad_u64_u32 v[0:1], s[2:3], s12, v3, v[0:1]
	v_add_u32_e32 v1, s4, v1
	global_load_dword v7, v[0:1], off
	global_load_dword v45, v49, s[8:9] offset:2640
	v_mad_u64_u32 v[0:1], s[2:3], s12, v4, v[0:1]
	;; [unrolled: 4-line block ×7, first 2 shown]
	v_add_u32_e32 v1, s4, v1
	global_load_dword v3, v[0:1], off
	global_load_dword v27, v49, s[8:9] offset:3960
	v_add_u32_e32 v16, 0xa00, v49
	s_load_dwordx4 s[4:7], s[6:7], 0x0
	v_add_u32_e32 v17, 0x600, v49
	s_mov_b64 s[2:3], 0x6e
	v_lshl_add_u64 v[20:21], v[24:25], 0, s[2:3]
	v_lshlrev_b32_e32 v25, 1, v24
	v_lshlrev_b32_e32 v32, 3, v24
	;; [unrolled: 1-line block ×3, first 2 shown]
	v_and_b32_e32 v28, 1, v24
	s_load_dwordx2 s[2:3], s[0:1], 0x38
	s_movk_i32 s0, 0xfc
	v_lshlrev_b32_e32 v29, 1, v20
	v_add_u32_e32 v19, 0x1b8, v25
	v_add_u32_e32 v21, 0x294, v25
	;; [unrolled: 1-line block ×3, first 2 shown]
                                        ; implicit-def: $vgpr64
                                        ; implicit-def: $vgpr65
	s_waitcnt vmcnt(17)
	v_lshrrev_b32_e32 v0, 16, v2
	v_mul_f16_sdwa v1, v48, v2 dst_sel:DWORD dst_unused:UNUSED_PAD src0_sel:WORD_1 src1_sel:DWORD
	v_mul_f16_sdwa v12, v48, v0 dst_sel:DWORD dst_unused:UNUSED_PAD src0_sel:WORD_1 src1_sel:DWORD
	v_fma_f16 v0, v48, v0, -v1
	v_fma_f16 v1, v48, v2, v12
	v_pack_b32_f16 v0, v1, v0
	s_waitcnt vmcnt(16)
	v_lshrrev_b32_e32 v2, 16, v5
	v_mul_f16_sdwa v12, v47, v5 dst_sel:DWORD dst_unused:UNUSED_PAD src0_sel:WORD_1 src1_sel:DWORD
	v_mul_f16_sdwa v1, v47, v2 dst_sel:DWORD dst_unused:UNUSED_PAD src0_sel:WORD_1 src1_sel:DWORD
	v_fma_f16 v2, v47, v2, -v12
	v_fma_f16 v1, v47, v5, v1
	s_waitcnt vmcnt(15)
	v_lshrrev_b32_e32 v5, 16, v6
	s_waitcnt vmcnt(14)
	v_mul_f16_sdwa v12, v46, v6 dst_sel:DWORD dst_unused:UNUSED_PAD src0_sel:WORD_1 src1_sel:DWORD
	v_pack_b32_f16 v1, v1, v2
	v_mul_f16_sdwa v2, v46, v5 dst_sel:DWORD dst_unused:UNUSED_PAD src0_sel:WORD_1 src1_sel:DWORD
	v_fma_f16 v5, v46, v5, -v12
	ds_write_b32 v49, v1 offset:2200
	v_fma_f16 v1, v46, v6, v2
	s_waitcnt vmcnt(13)
	v_lshrrev_b32_e32 v2, 16, v7
	s_waitcnt vmcnt(12)
	v_mul_f16_sdwa v6, v45, v7 dst_sel:DWORD dst_unused:UNUSED_PAD src0_sel:WORD_1 src1_sel:DWORD
	v_pack_b32_f16 v1, v1, v5
	v_mul_f16_sdwa v5, v45, v2 dst_sel:DWORD dst_unused:UNUSED_PAD src0_sel:WORD_1 src1_sel:DWORD
	v_fma_f16 v2, v45, v2, -v6
	ds_write2_b32 v49, v0, v1 offset1:110
	v_fma_f16 v0, v45, v7, v5
	s_waitcnt vmcnt(11)
	v_lshrrev_b32_e32 v1, 16, v8
	s_waitcnt vmcnt(10)
	v_mul_f16_sdwa v5, v44, v8 dst_sel:DWORD dst_unused:UNUSED_PAD src0_sel:WORD_1 src1_sel:DWORD
	v_pack_b32_f16 v0, v0, v2
	v_mul_f16_sdwa v2, v44, v1 dst_sel:DWORD dst_unused:UNUSED_PAD src0_sel:WORD_1 src1_sel:DWORD
	v_fma_f16 v1, v44, v1, -v5
	v_fma_f16 v2, v44, v8, v2
	v_pack_b32_f16 v2, v2, v1
	s_waitcnt vmcnt(9)
	v_lshrrev_b32_e32 v1, 16, v9
	s_waitcnt vmcnt(8)
	v_mul_f16_sdwa v5, v43, v1 dst_sel:DWORD dst_unused:UNUSED_PAD src0_sel:WORD_1 src1_sel:DWORD
	v_mul_f16_sdwa v6, v43, v9 dst_sel:DWORD dst_unused:UNUSED_PAD src0_sel:WORD_1 src1_sel:DWORD
	v_fma_f16 v5, v43, v9, v5
	v_fma_f16 v1, v43, v1, -v6
	v_pack_b32_f16 v1, v5, v1
	ds_write2_b32 v16, v0, v1 offset0:20 offset1:130
	s_waitcnt vmcnt(7)
	v_lshrrev_b32_e32 v0, 16, v10
	s_waitcnt vmcnt(6)
	v_mul_f16_sdwa v1, v42, v0 dst_sel:DWORD dst_unused:UNUSED_PAD src0_sel:WORD_1 src1_sel:DWORD
	v_mul_f16_sdwa v5, v42, v10 dst_sel:DWORD dst_unused:UNUSED_PAD src0_sel:WORD_1 src1_sel:DWORD
	v_fma_f16 v1, v42, v10, v1
	v_fma_f16 v0, v42, v0, -v5
	v_pack_b32_f16 v0, v1, v0
	v_add_u32_e32 v1, 0x200, v49
	ds_write2_b32 v1, v2, v0 offset0:92 offset1:202
	s_waitcnt vmcnt(5)
	v_lshrrev_b32_e32 v0, 16, v11
	s_waitcnt vmcnt(4)
	v_mul_f16_sdwa v2, v41, v0 dst_sel:DWORD dst_unused:UNUSED_PAD src0_sel:WORD_1 src1_sel:DWORD
	v_mul_f16_sdwa v5, v41, v11 dst_sel:DWORD dst_unused:UNUSED_PAD src0_sel:WORD_1 src1_sel:DWORD
	v_fma_f16 v2, v41, v11, v2
	v_fma_f16 v0, v41, v0, -v5
	v_pack_b32_f16 v2, v2, v0
	s_waitcnt vmcnt(3)
	v_lshrrev_b32_e32 v0, 16, v4
	s_waitcnt vmcnt(2)
	v_mul_f16_sdwa v5, v40, v0 dst_sel:DWORD dst_unused:UNUSED_PAD src0_sel:WORD_1 src1_sel:DWORD
	v_fma_f16 v5, v40, v4, v5
	v_mul_f16_sdwa v4, v40, v4 dst_sel:DWORD dst_unused:UNUSED_PAD src0_sel:WORD_1 src1_sel:DWORD
	v_fma_f16 v0, v40, v0, -v4
	v_pack_b32_f16 v0, v5, v0
	ds_write_b32 v49, v0 offset:1760
	s_waitcnt vmcnt(1)
	v_lshrrev_b32_e32 v0, 16, v3
	s_waitcnt vmcnt(0)
	v_mul_f16_sdwa v4, v27, v0 dst_sel:DWORD dst_unused:UNUSED_PAD src0_sel:WORD_1 src1_sel:DWORD
	v_fma_f16 v4, v27, v3, v4
	v_mul_f16_sdwa v3, v27, v3 dst_sel:DWORD dst_unused:UNUSED_PAD src0_sel:WORD_1 src1_sel:DWORD
	v_fma_f16 v0, v27, v0, -v3
	v_pack_b32_f16 v3, v4, v0
	v_add_u32_e32 v0, 0xc00, v49
	ds_write2_b32 v0, v2, v3 offset0:112 offset1:222
	s_waitcnt lgkmcnt(0)
	s_barrier
	ds_read2_b32 v[2:3], v49 offset1:110
	ds_read2_b32 v[8:9], v16 offset0:20 offset1:130
	ds_read2_b32 v[4:5], v17 offset0:56 offset1:166
	ds_read2_b32 v[10:11], v1 offset0:92 offset1:202
	ds_read2_b32 v[12:13], v0 offset0:112 offset1:222
	s_waitcnt lgkmcnt(0)
	v_pk_add_f16 v15, v3, v8 neg_lo:[0,1] neg_hi:[0,1]
	v_pk_add_f16 v7, v2, v5 neg_lo:[0,1] neg_hi:[0,1]
	v_pk_fma_f16 v14, v3, 2.0, v15 op_sel_hi:[1,0,1] neg_lo:[0,0,1] neg_hi:[0,0,1]
	v_pk_add_f16 v3, v10, v9 neg_lo:[0,1] neg_hi:[0,1]
	v_pk_fma_f16 v6, v2, 2.0, v7 op_sel_hi:[1,0,1] neg_lo:[0,0,1] neg_hi:[0,0,1]
	v_pk_fma_f16 v2, v10, 2.0, v3 op_sel_hi:[1,0,1] neg_lo:[0,0,1] neg_hi:[0,0,1]
	v_pk_add_f16 v9, v11, v12 neg_lo:[0,1] neg_hi:[0,1]
	v_lshlrev_b32_e32 v10, 2, v25
	v_pk_fma_f16 v8, v11, 2.0, v9 op_sel_hi:[1,0,1] neg_lo:[0,0,1] neg_hi:[0,0,1]
	v_pk_add_f16 v5, v4, v13 neg_lo:[0,1] neg_hi:[0,1]
	s_barrier
	ds_write_b64 v32, v[6:7]
	ds_write_b64 v34, v[14:15]
	v_add_u32_e32 v6, 0x400, v10
	v_pk_fma_f16 v4, v4, 2.0, v5 op_sel_hi:[1,0,1] neg_lo:[0,0,1] neg_hi:[0,0,1]
	ds_write2_b64 v6, v[2:3], v[8:9] offset0:92 offset1:202
	ds_write_b64 v10, v[4:5] offset:3520
	v_lshlrev_b32_e32 v2, 2, v28
	s_waitcnt lgkmcnt(0)
	s_barrier
	global_load_dword v33, v2, s[10:11]
	ds_read2_b32 v[2:3], v49 offset1:110
	ds_read2_b32 v[4:5], v17 offset0:56 offset1:166
	ds_read2_b32 v[6:7], v16 offset0:20 offset1:130
	ds_read2_b32 v[16:17], v1 offset0:92 offset1:202
	ds_read2_b32 v[8:9], v0 offset0:112 offset1:222
	s_waitcnt lgkmcnt(4)
	v_lshrrev_b32_e32 v10, 16, v2
	s_waitcnt lgkmcnt(3)
	v_lshrrev_b32_e32 v11, 16, v5
	;; [unrolled: 2-line block ×3, first 2 shown]
	v_lshrrev_b32_e32 v15, 16, v7
	s_waitcnt lgkmcnt(0)
	v_lshrrev_b32_e32 v18, 16, v8
	v_lshrrev_b32_e32 v23, 16, v9
	;; [unrolled: 1-line block ×6, first 2 shown]
	s_barrier
	s_waitcnt vmcnt(0)
	v_mul_f16_sdwa v30, v11, v33 dst_sel:DWORD dst_unused:UNUSED_PAD src0_sel:DWORD src1_sel:WORD_1
	v_fma_f16 v30, v5, v33, -v30
	v_mul_f16_sdwa v5, v5, v33 dst_sel:DWORD dst_unused:UNUSED_PAD src0_sel:DWORD src1_sel:WORD_1
	v_fma_f16 v5, v11, v33, v5
	v_mul_f16_sdwa v11, v13, v33 dst_sel:DWORD dst_unused:UNUSED_PAD src0_sel:DWORD src1_sel:WORD_1
	v_fma_f16 v11, v6, v33, -v11
	v_mul_f16_sdwa v6, v6, v33 dst_sel:DWORD dst_unused:UNUSED_PAD src0_sel:DWORD src1_sel:WORD_1
	v_fma_f16 v6, v13, v33, v6
	;; [unrolled: 4-line block ×5, first 2 shown]
	v_sub_f16_e32 v9, v2, v30
	v_sub_f16_e32 v23, v10, v5
	v_fma_f16 v8, v2, 2.0, -v9
	v_fma_f16 v18, v10, 2.0, -v23
	v_sub_f16_e32 v11, v3, v11
	v_sub_f16_e32 v36, v14, v7
	;; [unrolled: 1-line block ×3, first 2 shown]
	v_and_or_b32 v2, v25, s0, v28
	v_sub_f16_e32 v30, v12, v6
	v_fma_f16 v10, v3, 2.0, -v11
	v_fma_f16 v35, v14, 2.0, -v36
	;; [unrolled: 1-line block ×3, first 2 shown]
	v_sub_f16_e32 v17, v4, v50
	v_sub_f16_e32 v50, v39, v51
	v_lshlrev_b32_e32 v51, 2, v2
	v_pack_b32_f16 v2, v8, v18
	v_pack_b32_f16 v3, v9, v23
	s_movk_i32 s0, 0x1fc
	v_fma_f16 v31, v12, 2.0, -v30
	ds_write2_b32 v51, v2, v3 offset1:2
	v_and_or_b32 v2, v29, s0, v28
	v_sub_f16_e32 v13, v16, v13
	v_lshlrev_b32_e32 v52, 2, v2
	v_pack_b32_f16 v2, v10, v31
	v_pack_b32_f16 v3, v11, v30
	s_movk_i32 s0, 0x3fc
	v_fma_f16 v12, v16, 2.0, -v13
	ds_write2_b32 v52, v2, v3 offset1:2
	v_and_or_b32 v2, v19, s0, v28
	v_sub_f16_e32 v37, v38, v37
	v_lshlrev_b32_e32 v53, 2, v2
	v_pack_b32_f16 v2, v12, v35
	v_pack_b32_f16 v3, v13, v36
	v_fma_f16 v58, v38, 2.0, -v37
	ds_write2_b32 v53, v2, v3 offset1:2
	v_and_or_b32 v2, v21, s0, v28
	v_lshlrev_b32_e32 v54, 2, v2
	v_pack_b32_f16 v2, v14, v58
	v_pack_b32_f16 v3, v15, v37
	s_movk_i32 s0, 0x7fc
	v_fma_f16 v16, v4, 2.0, -v17
	v_fma_f16 v59, v39, 2.0, -v50
	ds_write2_b32 v54, v2, v3 offset1:2
	v_and_or_b32 v2, v22, s0, v28
	s_movk_i32 s0, 0x64
	v_lshlrev_b32_e32 v55, 2, v2
	v_pack_b32_f16 v2, v16, v59
	v_pack_b32_f16 v3, v17, v50
	v_cmp_gt_u16_e32 vcc, s0, v24
	ds_write2_b32 v55, v2, v3 offset1:2
	s_waitcnt lgkmcnt(0)
	s_barrier
	s_and_saveexec_b64 s[0:1], vcc
	s_cbranch_execz .LBB0_3
; %bb.2:
	ds_read2_b32 v[8:9], v49 offset1:100
	ds_read2_b32 v[10:11], v1 offset0:72 offset1:172
	v_add_u32_e32 v1, 0x400, v49
	ds_read2_b32 v[12:13], v1 offset0:144 offset1:244
	v_add_u32_e32 v1, 0x800, v49
	ds_read2_b32 v[14:15], v1 offset0:88 offset1:188
	ds_read2_b32 v[16:17], v0 offset0:32 offset1:132
	ds_read_b32 v64, v49 offset:4000
	s_waitcnt lgkmcnt(5)
	v_lshrrev_b32_e32 v18, 16, v8
	v_lshrrev_b32_e32 v23, 16, v9
	s_waitcnt lgkmcnt(4)
	v_lshrrev_b32_e32 v31, 16, v10
	v_lshrrev_b32_e32 v30, 16, v11
	s_waitcnt lgkmcnt(3)
	v_lshrrev_b32_e32 v35, 16, v12
	v_lshrrev_b32_e32 v36, 16, v13
	s_waitcnt lgkmcnt(2)
	v_lshrrev_b32_e32 v58, 16, v14
	v_lshrrev_b32_e32 v37, 16, v15
	s_waitcnt lgkmcnt(1)
	v_lshrrev_b32_e32 v59, 16, v16
	v_lshrrev_b32_e32 v50, 16, v17
	s_waitcnt lgkmcnt(0)
	v_lshrrev_b32_e32 v65, 16, v64
.LBB0_3:
	s_or_b64 exec, exec, s[0:1]
	v_and_b32_e32 v25, 3, v24
	v_mad_u64_u32 v[38:39], s[0:1], v25, 40, s[10:11]
	global_load_dwordx4 v[0:3], v[38:39], off offset:8
	global_load_dwordx4 v[4:7], v[38:39], off offset:24
	global_load_dwordx2 v[28:29], v[38:39], off offset:40
	s_movk_i32 s12, 0x3abb
	s_movk_i32 s13, 0x36a6
	s_mov_b32 s14, 0xb08e
	s_mov_b32 s15, 0xb93d
	;; [unrolled: 1-line block ×8, first 2 shown]
	s_barrier
	s_waitcnt vmcnt(2)
	v_mul_f16_sdwa v38, v23, v0 dst_sel:DWORD dst_unused:UNUSED_PAD src0_sel:DWORD src1_sel:WORD_1
	v_mul_f16_sdwa v39, v9, v0 dst_sel:DWORD dst_unused:UNUSED_PAD src0_sel:DWORD src1_sel:WORD_1
	s_waitcnt vmcnt(0)
	v_mul_f16_sdwa v76, v65, v29 dst_sel:DWORD dst_unused:UNUSED_PAD src0_sel:DWORD src1_sel:WORD_1
	v_mul_f16_sdwa v56, v31, v1 dst_sel:DWORD dst_unused:UNUSED_PAD src0_sel:DWORD src1_sel:WORD_1
	;; [unrolled: 1-line block ×8, first 2 shown]
	v_fma_f16 v38, v9, v0, -v38
	v_fma_f16 v64, v64, v29, -v76
	v_mul_f16_sdwa v57, v10, v1 dst_sel:DWORD dst_unused:UNUSED_PAD src0_sel:DWORD src1_sel:WORD_1
	v_mul_f16_sdwa v72, v59, v7 dst_sel:DWORD dst_unused:UNUSED_PAD src0_sel:DWORD src1_sel:WORD_1
	;; [unrolled: 1-line block ×4, first 2 shown]
	v_fma_f16 v9, v23, v0, v39
	v_fma_f16 v39, v10, v1, -v56
	v_fma_f16 v56, v11, v2, -v60
	v_fma_f16 v11, v30, v2, v61
	v_fma_f16 v30, v12, v3, -v62
	v_fma_f16 v12, v35, v3, v63
	;; [unrolled: 2-line block ×3, first 2 shown]
	v_sub_f16_e32 v77, v38, v64
	v_mul_f16_sdwa v68, v58, v5 dst_sel:DWORD dst_unused:UNUSED_PAD src0_sel:DWORD src1_sel:WORD_1
	v_mul_f16_sdwa v69, v14, v5 dst_sel:DWORD dst_unused:UNUSED_PAD src0_sel:DWORD src1_sel:WORD_1
	;; [unrolled: 1-line block ×3, first 2 shown]
	v_fma_f16 v10, v31, v1, v57
	v_fma_f16 v62, v16, v7, -v72
	v_fma_f16 v16, v59, v7, v73
	v_fma_f16 v17, v50, v28, v75
	v_add_f16_e32 v85, v9, v23
	v_sub_f16_e32 v90, v9, v23
	v_sub_f16_e32 v78, v39, v63
	v_mul_f16_e32 v73, 0xb853, v77
	v_mul_f16_sdwa v66, v36, v4 dst_sel:DWORD dst_unused:UNUSED_PAD src0_sel:DWORD src1_sel:WORD_1
	v_mul_f16_sdwa v71, v15, v6 dst_sel:DWORD dst_unused:UNUSED_PAD src0_sel:DWORD src1_sel:WORD_1
	v_fma_f16 v60, v14, v5, -v68
	v_fma_f16 v14, v58, v5, v69
	v_fma_f16 v61, v15, v6, -v70
	v_add_f16_e32 v69, v38, v64
	v_add_f16_e32 v86, v10, v17
	v_sub_f16_e32 v91, v10, v17
	v_sub_f16_e32 v80, v56, v62
	v_mul_f16_e32 v65, 0xb853, v90
	v_mul_f16_e32 v74, 0xbb47, v78
	v_fma_f16 v35, v85, s12, -v73
	v_mul_f16_sdwa v67, v13, v4 dst_sel:DWORD dst_unused:UNUSED_PAD src0_sel:DWORD src1_sel:WORD_1
	v_fma_f16 v57, v13, v4, -v66
	v_fma_f16 v15, v37, v6, v71
	v_add_f16_e32 v70, v39, v63
	v_add_f16_e32 v87, v11, v16
	v_sub_f16_e32 v93, v11, v16
	v_sub_f16_e32 v81, v30, v61
	v_mul_f16_e32 v66, 0xbb47, v91
	v_mul_f16_e32 v75, 0xbbeb, v80
	v_fma_f16 v31, v69, s12, v65
	v_fma_f16 v37, v86, s13, -v74
	v_add_f16_e32 v35, v18, v35
	v_fma_f16 v13, v36, v4, v67
	v_add_f16_e32 v71, v56, v62
	v_sub_f16_e32 v92, v12, v15
	v_add_f16_e32 v88, v12, v15
	v_mul_f16_e32 v67, 0xbbeb, v93
	v_mul_f16_e32 v76, 0xba0c, v81
	v_fma_f16 v36, v70, s13, v66
	v_fma_f16 v58, v87, s14, -v75
	v_add_f16_e32 v31, v8, v31
	v_add_f16_e32 v35, v37, v35
	;; [unrolled: 1-line block ×3, first 2 shown]
	v_mul_f16_e32 v68, 0xba0c, v92
	v_fma_f16 v50, v71, s14, v67
	v_fma_f16 v79, v88, s15, -v76
	v_add_f16_e32 v31, v36, v31
	v_add_f16_e32 v35, v58, v35
	v_sub_f16_e32 v94, v13, v14
	v_fma_f16 v59, v72, s15, v68
	v_add_f16_e32 v31, v50, v31
	v_add_f16_e32 v35, v79, v35
	;; [unrolled: 1-line block ×3, first 2 shown]
	v_mul_f16_e32 v79, 0xb482, v94
	v_sub_f16_e32 v84, v57, v60
	v_add_f16_e32 v31, v59, v31
	v_fma_f16 v36, v83, s16, v79
	v_add_f16_e32 v89, v13, v14
	v_mul_f16_e32 v82, 0xb482, v84
	v_add_f16_e32 v58, v36, v31
	v_fma_f16 v31, v89, s16, -v82
	v_add_f16_e32 v59, v31, v35
	v_lshlrev_b32_e32 v37, 2, v19
	v_lshlrev_b32_e32 v36, 2, v21
	;; [unrolled: 1-line block ×3, first 2 shown]
	v_lshrrev_b32_e32 v50, 2, v24
	v_mov_b32_e32 v31, 0
	s_and_saveexec_b64 s[0:1], vcc
	s_cbranch_execz .LBB0_5
; %bb.4:
	v_mul_f16_e32 v19, 0x36a6, v85
	s_movk_i32 s22, 0x3b47
	v_fma_f16 v21, v77, s22, v19
	v_mul_f16_e32 v22, 0xb93d, v86
	s_movk_i32 s23, 0x3a0c
	v_add_f16_e32 v21, v18, v21
	v_fma_f16 v95, v78, s23, v22
	v_add_f16_e32 v21, v95, v21
	v_mul_f16_e32 v95, 0xbbad, v87
	v_fma_f16 v96, v80, s21, v95
	v_add_f16_e32 v21, v96, v21
	v_mul_f16_e32 v96, 0xb08e, v88
	;; [unrolled: 3-line block ×4, first 2 shown]
	v_fma_f16 v99, v69, s13, v98
	v_mul_f16_e32 v100, 0xba0c, v91
	v_add_f16_e32 v99, v8, v99
	v_fma_f16 v101, v70, s15, v100
	v_add_f16_e32 v99, v101, v99
	v_mul_f16_e32 v101, 0x3482, v93
	v_fma_f16 v102, v71, s16, v101
	v_add_f16_e32 v99, v102, v99
	v_mul_f16_e32 v102, 0x3beb, v92
	;; [unrolled: 3-line block ×3, first 2 shown]
	v_fma_f16 v104, v83, s12, v103
	s_movk_i32 s25, 0x3beb
	v_add_f16_e32 v99, v104, v99
	v_mul_f16_e32 v104, 0xb08e, v85
	v_fma_f16 v105, v77, s25, v104
	v_mul_f16_e32 v106, 0xbbad, v86
	v_add_f16_e32 v105, v18, v105
	v_fma_f16 v107, v78, s21, v106
	v_add_f16_e32 v105, v107, v105
	v_mul_f16_e32 v107, 0x36a6, v87
	v_fma_f16 v108, v80, s17, v107
	s_movk_i32 s26, 0x3853
	v_add_f16_e32 v105, v108, v105
	v_mul_f16_e32 v108, 0x3abb, v88
	v_fma_f16 v109, v81, s26, v108
	v_add_f16_e32 v105, v109, v105
	v_mul_f16_e32 v109, 0xb93d, v89
	v_fma_f16 v110, v84, s23, v109
	;; [unrolled: 3-line block ×3, first 2 shown]
	v_mul_f16_e32 v112, 0x3482, v91
	v_add_f16_e32 v111, v8, v111
	v_fma_f16 v113, v70, s16, v112
	v_add_f16_e32 v111, v113, v111
	v_mul_f16_e32 v113, 0x3b47, v93
	v_fma_f16 v114, v71, s13, v113
	v_add_f16_e32 v111, v114, v111
	v_mul_f16_e32 v114, 0xb853, v92
	;; [unrolled: 3-line block ×4, first 2 shown]
	v_fma_f16 v117, v77, s23, v116
	v_mul_f16_e32 v118, 0xb08e, v86
	v_add_f16_e32 v117, v18, v117
	v_fma_f16 v119, v78, s20, v118
	v_add_f16_e32 v117, v119, v117
	v_mul_f16_e32 v119, 0x3abb, v87
	v_fma_f16 v120, v80, s26, v119
	s_movk_i32 s24, 0x3482
	v_add_f16_e32 v117, v120, v117
	v_mul_f16_e32 v120, 0xbbad, v88
	v_fma_f16 v121, v81, s24, v120
	v_add_f16_e32 v117, v121, v117
	v_mul_f16_e32 v121, 0x36a6, v89
	v_fma_f16 v122, v84, s17, v121
	;; [unrolled: 3-line block ×3, first 2 shown]
	v_mul_f16_e32 v124, 0x3beb, v91
	v_add_f16_e32 v123, v8, v123
	v_fma_f16 v125, v70, s14, v124
	v_add_f16_e32 v123, v125, v123
	v_mul_f16_e32 v125, 0xb853, v93
	v_fma_f16 v126, v71, s12, v125
	v_add_f16_e32 v123, v126, v123
	v_mul_f16_e32 v126, 0xb482, v92
	;; [unrolled: 3-line block ×4, first 2 shown]
	v_fma_f16 v129, v77, s24, v128
	v_mul_f16_e32 v130, 0x3abb, v86
	v_add_f16_e32 v129, v18, v129
	v_fma_f16 v131, v78, s19, v130
	v_add_f16_e32 v129, v131, v129
	v_mul_f16_e32 v131, 0xb93d, v87
	v_fma_f16 v132, v80, s23, v131
	v_add_f16_e32 v129, v132, v129
	v_mul_f16_e32 v132, 0x36a6, v88
	;; [unrolled: 3-line block ×3, first 2 shown]
	v_fma_f16 v134, v84, s25, v133
	v_mul_f16_e32 v90, 0xb482, v90
	v_add_f16_e32 v129, v134, v129
	v_fma_f16 v134, v69, s16, v90
	v_mul_f16_e32 v91, 0x3853, v91
	v_fma_f16 v90, v69, s16, -v90
	v_fma_f16 v135, v70, s12, v91
	v_mul_f16_e32 v93, 0xba0c, v93
	v_add_f16_e32 v90, v8, v90
	v_fma_f16 v91, v70, s12, -v91
	v_mul_f16_e32 v92, 0x3b47, v92
	v_add_f16_e32 v90, v91, v90
	v_fma_f16 v91, v71, s15, -v93
	;; [unrolled: 3-line block ×3, first 2 shown]
	v_fma_f16 v104, v77, s20, v104
	v_fma_f16 v19, v77, s17, v19
	v_add_f16_e32 v134, v8, v134
	v_add_f16_e32 v90, v91, v90
	v_fma_f16 v91, v83, s14, -v94
	v_add_f16_e32 v104, v18, v104
	v_fma_f16 v106, v78, s24, v106
	v_add_f16_e32 v19, v18, v19
	v_fma_f16 v22, v78, s18, v22
	;; [unrolled: 2-line block ×10, first 2 shown]
	v_add_f16_e32 v91, v92, v91
	v_mul_f16_e32 v92, 0x3abb, v69
	v_add_f16_e32 v104, v106, v104
	v_fma_f16 v106, v84, s18, v109
	v_add_f16_e32 v19, v22, v19
	v_fma_f16 v22, v84, s26, v97
	v_fma_f16 v118, v69, s15, -v122
	v_add_f16_e32 v104, v106, v104
	v_fma_f16 v106, v69, s14, -v110
	v_add_f16_e32 v19, v22, v19
	v_fma_f16 v22, v69, s13, -v98
	v_sub_f16_e32 v65, v92, v65
	v_add_f16_e32 v118, v8, v118
	v_add_f16_e32 v106, v8, v106
	;; [unrolled: 1-line block ×3, first 2 shown]
	v_fma_f16 v69, v70, s15, -v100
	v_add_f16_e32 v65, v8, v65
	v_add_f16_e32 v8, v8, v38
	;; [unrolled: 1-line block ×4, first 2 shown]
	v_fma_f16 v69, v71, s16, -v101
	v_add_f16_e32 v8, v8, v39
	v_add_f16_e32 v9, v9, v10
	;; [unrolled: 1-line block ×3, first 2 shown]
	v_fma_f16 v69, v72, s14, -v102
	v_add_f16_e32 v8, v8, v56
	v_add_f16_e32 v9, v9, v11
	v_mul_f16_e32 v85, 0x3abb, v85
	v_fma_f16 v93, v80, s19, v119
	v_add_f16_e32 v22, v69, v22
	v_fma_f16 v69, v83, s12, -v103
	v_add_f16_e32 v8, v8, v30
	v_add_f16_e32 v9, v9, v12
	;; [unrolled: 1-line block ×3, first 2 shown]
	v_fma_f16 v135, v83, s14, v94
	v_add_f16_e32 v91, v93, v91
	v_mul_f16_e32 v93, 0x36a6, v70
	v_mul_f16_e32 v86, 0x36a6, v86
	v_fma_f16 v94, v81, s21, v120
	v_add_f16_e32 v22, v69, v22
	v_add_f16_e32 v69, v73, v85
	;; [unrolled: 1-line block ×5, first 2 shown]
	v_mul_f16_e32 v94, 0xb08e, v71
	v_mul_f16_e32 v87, 0xb08e, v87
	v_fma_f16 v116, v84, s22, v121
	v_fma_f16 v119, v70, s14, -v124
	v_fma_f16 v107, v70, s16, -v112
	v_add_f16_e32 v69, v18, v69
	v_add_f16_e32 v70, v74, v86
	v_sub_f16_e32 v66, v93, v66
	v_add_f16_e32 v8, v8, v60
	v_add_f16_e32 v9, v9, v14
	v_fma_f16 v128, v77, s21, v128
	v_add_f16_e32 v91, v116, v91
	v_mul_f16_e32 v116, 0xb93d, v72
	v_mul_f16_e32 v88, 0xb93d, v88
	v_add_f16_e32 v69, v70, v69
	v_add_f16_e32 v70, v75, v87
	;; [unrolled: 1-line block ×3, first 2 shown]
	v_sub_f16_e32 v66, v94, v67
	v_add_f16_e32 v8, v8, v61
	v_add_f16_e32 v9, v9, v15
	;; [unrolled: 1-line block ×3, first 2 shown]
	v_fma_f16 v130, v78, s26, v130
	v_add_f16_e32 v118, v119, v118
	v_mul_f16_e32 v119, 0xbbad, v83
	v_mul_f16_e32 v89, 0xbbad, v89
	v_add_f16_e32 v106, v107, v106
	v_fma_f16 v107, v71, s13, -v113
	v_add_f16_e32 v69, v70, v69
	v_add_f16_e32 v70, v76, v88
	;; [unrolled: 1-line block ×3, first 2 shown]
	v_sub_f16_e32 v66, v116, v68
	v_add_f16_e32 v8, v8, v62
	v_add_f16_e32 v9, v9, v16
	;; [unrolled: 1-line block ×3, first 2 shown]
	v_fma_f16 v130, v80, s18, v131
	v_fma_f16 v120, v71, s12, -v125
	v_add_f16_e32 v106, v107, v106
	v_fma_f16 v107, v72, s12, -v114
	v_add_f16_e32 v69, v70, v69
	v_add_f16_e32 v70, v82, v89
	;; [unrolled: 1-line block ×3, first 2 shown]
	v_sub_f16_e32 v66, v119, v79
	v_add_f16_e32 v8, v8, v63
	v_add_f16_e32 v9, v9, v17
	v_mul_u32_u24_e32 v10, 44, v50
	v_add_f16_e32 v128, v130, v128
	v_fma_f16 v130, v81, s22, v132
	v_add_f16_e32 v118, v120, v118
	v_fma_f16 v120, v72, s16, -v126
	v_add_f16_e32 v106, v107, v106
	v_fma_f16 v107, v83, s15, -v115
	v_add_f16_e32 v69, v70, v69
	v_add_f16_e32 v65, v66, v65
	;; [unrolled: 1-line block ×4, first 2 shown]
	v_or_b32_e32 v10, v10, v25
	v_add_f16_e32 v128, v130, v128
	v_fma_f16 v130, v84, s20, v133
	v_add_f16_e32 v118, v120, v118
	v_fma_f16 v120, v83, s13, -v127
	v_add_f16_e32 v106, v107, v106
	v_lshlrev_b32_e32 v10, 2, v10
	v_pack_b32_f16 v8, v8, v9
	v_pack_b32_f16 v9, v65, v69
	v_add_f16_e32 v128, v130, v128
	v_add_f16_e32 v118, v120, v118
	ds_write2_b32 v10, v8, v9 offset1:4
	v_pack_b32_f16 v8, v22, v19
	v_pack_b32_f16 v9, v106, v104
	v_add_f16_e32 v134, v135, v134
	ds_write2_b32 v10, v8, v9 offset0:8 offset1:12
	v_pack_b32_f16 v8, v118, v91
	v_pack_b32_f16 v9, v90, v128
	ds_write2_b32 v10, v8, v9 offset0:16 offset1:20
	v_pack_b32_f16 v8, v134, v129
	v_pack_b32_f16 v9, v123, v117
	;; [unrolled: 3-line block ×3, first 2 shown]
	s_mov_b32 s12, 0x5040100
	ds_write2_b32 v10, v8, v9 offset0:32 offset1:36
	v_perm_b32 v8, v59, v58, s12
	ds_write_b32 v10, v8 offset:160
.LBB0_5:
	s_or_b64 exec, exec, s[0:1]
	s_movk_i32 s0, 0xbb
	v_mul_lo_u16_sdwa v8, v24, s0 dst_sel:DWORD dst_unused:UNUSED_PAD src0_sel:BYTE_0 src1_sel:DWORD
	v_lshrrev_b16_e32 v21, 13, v8
	v_mul_lo_u16_e32 v8, 44, v21
	v_sub_u16_e32 v8, v24, v8
	v_and_b32_e32 v30, 0xff, v8
	v_lshlrev_b32_e32 v8, 4, v30
	s_waitcnt lgkmcnt(0)
	s_barrier
	global_load_dwordx4 v[8:11], v8, s[10:11] offset:168
	v_mul_lo_u16_sdwa v12, v20, s0 dst_sel:DWORD dst_unused:UNUSED_PAD src0_sel:BYTE_0 src1_sel:DWORD
	v_lshrrev_b16_e32 v64, 13, v12
	v_mul_lo_u16_e32 v12, 44, v64
	v_sub_u16_e32 v12, v20, v12
	v_and_b32_e32 v65, 0xff, v12
	v_lshlrev_b32_e32 v12, 4, v65
	global_load_dwordx4 v[12:15], v12, s[10:11] offset:168
	v_add_u32_e32 v61, 0x200, v49
	ds_read2_b32 v[16:17], v49 offset1:110
	v_add_u32_e32 v39, 0x600, v49
	v_add_u32_e32 v38, 0xa00, v49
	v_add_u32_e32 v60, 0xc00, v49
	ds_read2_b32 v[18:19], v61 offset0:92 offset1:202
	ds_read2_b32 v[22:23], v39 offset0:56 offset1:166
	ds_read2_b32 v[56:57], v38 offset0:20 offset1:130
	ds_read2_b32 v[62:63], v60 offset0:112 offset1:222
	s_movk_i32 s1, 0x3b9c
	s_waitcnt lgkmcnt(3)
	v_lshrrev_b32_e32 v68, 16, v18
	s_waitcnt lgkmcnt(2)
	v_lshrrev_b32_e32 v69, 16, v22
	s_waitcnt lgkmcnt(1)
	v_lshrrev_b32_e32 v70, 16, v56
	s_waitcnt lgkmcnt(0)
	v_lshrrev_b32_e32 v71, 16, v62
	s_mov_b32 s13, 0xbb9c
	s_movk_i32 s0, 0x38b4
	s_mov_b32 s14, 0xb8b4
	v_lshrrev_b32_e32 v66, 16, v16
	s_movk_i32 s12, 0x34f2
	v_lshrrev_b32_e32 v73, 16, v23
	v_lshrrev_b32_e32 v74, 16, v57
	v_lshrrev_b32_e32 v72, 16, v19
	v_lshrrev_b32_e32 v75, 16, v63
	v_lshrrev_b32_e32 v67, 16, v17
	v_mul_u32_u24_e32 v21, 0xdc, v21
	s_barrier
	v_lshlrev_b32_e32 v20, 4, v20
	s_waitcnt vmcnt(1)
	v_mul_f16_sdwa v78, v69, v9 dst_sel:DWORD dst_unused:UNUSED_PAD src0_sel:DWORD src1_sel:WORD_1
	v_mul_f16_sdwa v80, v70, v10 dst_sel:DWORD dst_unused:UNUSED_PAD src0_sel:DWORD src1_sel:WORD_1
	;; [unrolled: 1-line block ×8, first 2 shown]
	v_fma_f16 v22, v22, v9, -v78
	v_fma_f16 v56, v56, v10, -v80
	;; [unrolled: 1-line block ×3, first 2 shown]
	v_fma_f16 v68, v68, v8, v77
	v_fma_f16 v62, v62, v11, -v82
	v_fma_f16 v71, v71, v11, v83
	v_add_f16_e32 v77, v22, v56
	v_fma_f16 v69, v69, v9, v79
	v_fma_f16 v70, v70, v10, v81
	v_sub_f16_e32 v78, v68, v71
	v_sub_f16_e32 v80, v18, v22
	;; [unrolled: 1-line block ×3, first 2 shown]
	v_add_f16_e32 v82, v18, v62
	v_fma_f16 v77, v77, -0.5, v16
	v_add_f16_e32 v76, v16, v18
	v_sub_f16_e32 v79, v69, v70
	v_add_f16_e32 v80, v80, v81
	v_fma_f16 v16, v82, -0.5, v16
	v_fma_f16 v81, v78, s1, v77
	v_fma_f16 v77, v78, s13, v77
	v_add_f16_e32 v76, v76, v22
	v_fma_f16 v82, v79, s13, v16
	v_fma_f16 v81, v79, s0, v81
	;; [unrolled: 1-line block ×4, first 2 shown]
	v_add_f16_e32 v79, v69, v70
	v_add_f16_e32 v76, v76, v56
	v_fma_f16 v81, v80, s12, v81
	v_fma_f16 v77, v80, s12, v77
	;; [unrolled: 1-line block ×3, first 2 shown]
	v_sub_f16_e32 v82, v22, v18
	v_sub_f16_e32 v83, v56, v62
	v_fma_f16 v79, v79, -0.5, v66
	v_sub_f16_e32 v18, v18, v62
	v_add_f16_e32 v76, v76, v62
	v_add_f16_e32 v82, v82, v83
	v_fma_f16 v16, v78, s14, v16
	v_fma_f16 v62, v18, s13, v79
	v_sub_f16_e32 v22, v22, v56
	v_fma_f16 v80, v82, s12, v80
	v_fma_f16 v16, v82, s12, v16
	;; [unrolled: 1-line block ×3, first 2 shown]
	v_sub_f16_e32 v62, v68, v69
	v_sub_f16_e32 v82, v71, v70
	v_add_f16_e32 v62, v62, v82
	v_fma_f16 v82, v62, s12, v56
	v_fma_f16 v56, v18, s1, v79
	v_fma_f16 v56, v22, s0, v56
	v_fma_f16 v62, v62, s12, v56
	v_add_f16_e32 v56, v68, v71
	s_waitcnt vmcnt(0)
	v_mul_f16_sdwa v86, v73, v13 dst_sel:DWORD dst_unused:UNUSED_PAD src0_sel:DWORD src1_sel:WORD_1
	v_mul_f16_sdwa v88, v74, v14 dst_sel:DWORD dst_unused:UNUSED_PAD src0_sel:DWORD src1_sel:WORD_1
	v_add_f16_e32 v78, v66, v68
	v_fma_f16 v56, v56, -0.5, v66
	v_mul_f16_sdwa v85, v19, v12 dst_sel:DWORD dst_unused:UNUSED_PAD src0_sel:DWORD src1_sel:WORD_1
	v_mul_f16_sdwa v87, v23, v13 dst_sel:DWORD dst_unused:UNUSED_PAD src0_sel:DWORD src1_sel:WORD_1
	;; [unrolled: 1-line block ×4, first 2 shown]
	v_fma_f16 v23, v23, v13, -v86
	v_fma_f16 v57, v57, v14, -v88
	v_add_f16_e32 v78, v78, v69
	v_fma_f16 v66, v22, s1, v56
	v_sub_f16_e32 v68, v69, v68
	v_sub_f16_e32 v69, v70, v71
	v_fma_f16 v22, v22, s13, v56
	v_mul_f16_sdwa v84, v72, v12 dst_sel:DWORD dst_unused:UNUSED_PAD src0_sel:DWORD src1_sel:WORD_1
	v_mul_f16_sdwa v90, v75, v15 dst_sel:DWORD dst_unused:UNUSED_PAD src0_sel:DWORD src1_sel:WORD_1
	v_fma_f16 v72, v72, v12, v85
	v_fma_f16 v75, v75, v15, v91
	;; [unrolled: 1-line block ×3, first 2 shown]
	v_add_f16_e32 v68, v68, v69
	v_fma_f16 v18, v18, s0, v22
	v_add_f16_e32 v56, v23, v57
	v_fma_f16 v19, v19, v12, -v84
	v_fma_f16 v73, v73, v13, v87
	v_fma_f16 v74, v74, v14, v89
	v_fma_f16 v63, v63, v15, -v90
	v_add_f16_e32 v78, v78, v70
	v_fma_f16 v66, v68, s12, v66
	v_fma_f16 v18, v68, s12, v18
	v_fma_f16 v56, v56, -0.5, v17
	v_sub_f16_e32 v68, v72, v75
	v_add_f16_e32 v78, v78, v71
	v_fma_f16 v69, v68, s1, v56
	v_sub_f16_e32 v70, v73, v74
	v_sub_f16_e32 v71, v19, v23
	;; [unrolled: 1-line block ×3, first 2 shown]
	v_fma_f16 v56, v68, s13, v56
	v_fma_f16 v69, v70, s0, v69
	v_add_f16_e32 v71, v71, v79
	v_fma_f16 v56, v70, s14, v56
	v_fma_f16 v69, v71, s12, v69
	;; [unrolled: 1-line block ×3, first 2 shown]
	v_add_f16_e32 v56, v19, v63
	v_add_f16_e32 v22, v17, v19
	v_fma_f16 v17, v56, -0.5, v17
	v_fma_f16 v56, v70, s13, v17
	v_sub_f16_e32 v79, v23, v19
	v_sub_f16_e32 v83, v57, v63
	v_fma_f16 v56, v68, s0, v56
	v_add_f16_e32 v79, v79, v83
	v_fma_f16 v83, v79, s12, v56
	v_add_f16_e32 v56, v67, v72
	v_add_f16_e32 v56, v56, v73
	v_fma_f16 v17, v70, s1, v17
	v_add_f16_e32 v56, v56, v74
	;; [unrolled: 3-line block ×3, first 2 shown]
	v_add_f16_e32 v56, v73, v74
	v_add_f16_e32 v22, v22, v57
	v_fma_f16 v56, v56, -0.5, v67
	v_sub_f16_e32 v19, v19, v63
	v_add_f16_e32 v22, v22, v63
	v_fma_f16 v63, v19, s13, v56
	v_sub_f16_e32 v23, v23, v57
	v_fma_f16 v57, v23, s14, v63
	v_sub_f16_e32 v63, v72, v73
	v_sub_f16_e32 v70, v75, v74
	v_fma_f16 v56, v19, s1, v56
	v_add_f16_e32 v63, v63, v70
	v_fma_f16 v56, v23, s0, v56
	v_fma_f16 v70, v63, s12, v57
	;; [unrolled: 1-line block ×3, first 2 shown]
	v_add_f16_e32 v56, v72, v75
	v_fma_f16 v56, v56, -0.5, v67
	v_fma_f16 v57, v23, s1, v56
	v_fma_f16 v23, v23, s13, v56
	;; [unrolled: 1-line block ×4, first 2 shown]
	v_add_lshl_u32 v56, v21, v30, 2
	v_pack_b32_f16 v21, v76, v78
	v_pack_b32_f16 v23, v81, v82
	ds_write2_b32 v56, v21, v23 offset1:44
	v_pack_b32_f16 v21, v80, v66
	v_pack_b32_f16 v16, v16, v18
	v_sub_f16_e32 v67, v73, v72
	v_sub_f16_e32 v72, v74, v75
	ds_write2_b32 v56, v21, v16 offset0:88 offset1:132
	v_pack_b32_f16 v16, v77, v62
	v_add_f16_e32 v67, v67, v72
	ds_write_b32 v56, v16 offset:704
	v_mul_u32_u24_e32 v16, 0xdc, v64
	v_fma_f16 v17, v79, s12, v17
	v_fma_f16 v72, v67, s12, v57
	v_fma_f16 v19, v67, s12, v19
	v_add_lshl_u32 v57, v16, v65, 2
	v_pack_b32_f16 v16, v22, v68
	v_pack_b32_f16 v18, v69, v70
	ds_write2_b32 v57, v16, v18 offset1:44
	v_pack_b32_f16 v16, v83, v72
	v_pack_b32_f16 v17, v17, v19
	ds_write2_b32 v57, v16, v17 offset0:88 offset1:132
	v_pack_b32_f16 v16, v71, v63
	ds_write_b32 v57, v16 offset:704
	v_lshlrev_b32_e32 v16, 4, v24
	s_waitcnt lgkmcnt(0)
	s_barrier
	global_load_dwordx4 v[16:19], v16, s[10:11] offset:872
	v_lshlrev_b32_e32 v30, 2, v24
	global_load_dwordx4 v[20:23], v20, s[10:11] offset:872
	ds_read2_b32 v[62:63], v49 offset1:110
	ds_read2_b32 v[64:65], v61 offset0:92 offset1:202
	ds_read2_b32 v[66:67], v39 offset0:56 offset1:166
	;; [unrolled: 1-line block ×4, first 2 shown]
	s_waitcnt lgkmcnt(4)
	v_lshrrev_b32_e32 v72, 16, v62
	s_waitcnt lgkmcnt(3)
	v_lshrrev_b32_e32 v73, 16, v64
	;; [unrolled: 2-line block ×5, first 2 shown]
	v_lshrrev_b32_e32 v78, 16, v65
	v_lshrrev_b32_e32 v79, 16, v67
	;; [unrolled: 1-line block ×5, first 2 shown]
	v_lshl_add_u64 v[30:31], s[8:9], 0, v[30:31]
	s_waitcnt vmcnt(1)
	v_mul_f16_sdwa v82, v73, v16 dst_sel:DWORD dst_unused:UNUSED_PAD src0_sel:DWORD src1_sel:WORD_1
	v_fma_f16 v82, v64, v16, -v82
	v_mul_f16_sdwa v64, v64, v16 dst_sel:DWORD dst_unused:UNUSED_PAD src0_sel:DWORD src1_sel:WORD_1
	v_fma_f16 v64, v73, v16, v64
	v_mul_f16_sdwa v73, v74, v17 dst_sel:DWORD dst_unused:UNUSED_PAD src0_sel:DWORD src1_sel:WORD_1
	v_fma_f16 v73, v66, v17, -v73
	v_mul_f16_sdwa v66, v66, v17 dst_sel:DWORD dst_unused:UNUSED_PAD src0_sel:DWORD src1_sel:WORD_1
	v_fma_f16 v66, v74, v17, v66
	;; [unrolled: 4-line block ×4, first 2 shown]
	s_waitcnt vmcnt(0)
	v_mul_f16_sdwa v76, v78, v20 dst_sel:DWORD dst_unused:UNUSED_PAD src0_sel:DWORD src1_sel:WORD_1
	v_fma_f16 v76, v65, v20, -v76
	v_mul_f16_sdwa v65, v65, v20 dst_sel:DWORD dst_unused:UNUSED_PAD src0_sel:DWORD src1_sel:WORD_1
	v_fma_f16 v65, v78, v20, v65
	v_mul_f16_sdwa v78, v79, v21 dst_sel:DWORD dst_unused:UNUSED_PAD src0_sel:DWORD src1_sel:WORD_1
	v_fma_f16 v78, v67, v21, -v78
	v_mul_f16_sdwa v67, v67, v21 dst_sel:DWORD dst_unused:UNUSED_PAD src0_sel:DWORD src1_sel:WORD_1
	v_fma_f16 v67, v79, v21, v67
	v_mul_f16_sdwa v79, v80, v22 dst_sel:DWORD dst_unused:UNUSED_PAD src0_sel:DWORD src1_sel:WORD_1
	v_add_f16_e32 v83, v73, v74
	v_fma_f16 v79, v69, v22, -v79
	v_mul_f16_sdwa v69, v69, v22 dst_sel:DWORD dst_unused:UNUSED_PAD src0_sel:DWORD src1_sel:WORD_1
	v_fma_f16 v83, v83, -0.5, v62
	v_sub_f16_e32 v84, v64, v70
	v_fma_f16 v69, v80, v22, v69
	v_mul_f16_sdwa v80, v81, v23 dst_sel:DWORD dst_unused:UNUSED_PAD src0_sel:DWORD src1_sel:WORD_1
	v_fma_f16 v85, v84, s1, v83
	v_sub_f16_e32 v86, v66, v68
	v_sub_f16_e32 v87, v82, v73
	;; [unrolled: 1-line block ×3, first 2 shown]
	v_fma_f16 v83, v84, s13, v83
	v_fma_f16 v80, v71, v23, -v80
	v_mul_f16_sdwa v71, v71, v23 dst_sel:DWORD dst_unused:UNUSED_PAD src0_sel:DWORD src1_sel:WORD_1
	v_fma_f16 v85, v86, s0, v85
	v_add_f16_e32 v87, v87, v88
	v_fma_f16 v83, v86, s14, v83
	v_fma_f16 v71, v81, v23, v71
	v_add_f16_e32 v81, v62, v82
	v_fma_f16 v85, v87, s12, v85
	v_fma_f16 v83, v87, s12, v83
	v_add_f16_e32 v87, v82, v75
	v_add_f16_e32 v81, v81, v73
	v_fma_f16 v62, v87, -0.5, v62
	v_add_f16_e32 v81, v81, v74
	v_fma_f16 v87, v86, s13, v62
	v_fma_f16 v62, v86, s1, v62
	v_add_f16_e32 v86, v66, v68
	v_add_f16_e32 v81, v81, v75
	v_sub_f16_e32 v88, v73, v82
	v_sub_f16_e32 v89, v74, v75
	v_fma_f16 v86, v86, -0.5, v72
	v_sub_f16_e32 v75, v82, v75
	v_fma_f16 v87, v84, s0, v87
	v_add_f16_e32 v88, v88, v89
	v_fma_f16 v62, v84, s14, v62
	v_fma_f16 v82, v75, s13, v86
	v_sub_f16_e32 v73, v73, v74
	v_fma_f16 v87, v88, s12, v87
	v_fma_f16 v62, v88, s12, v62
	;; [unrolled: 1-line block ×3, first 2 shown]
	v_sub_f16_e32 v82, v64, v66
	v_sub_f16_e32 v88, v70, v68
	v_fma_f16 v86, v75, s1, v86
	v_add_f16_e32 v84, v72, v64
	v_add_f16_e32 v82, v82, v88
	v_fma_f16 v86, v73, s0, v86
	v_add_f16_e32 v84, v84, v66
	v_fma_f16 v74, v82, s12, v74
	v_fma_f16 v82, v82, s12, v86
	v_add_f16_e32 v86, v64, v70
	v_add_f16_e32 v84, v84, v68
	v_fma_f16 v72, v86, -0.5, v72
	v_add_f16_e32 v84, v84, v70
	v_fma_f16 v86, v73, s1, v72
	v_sub_f16_e32 v64, v66, v64
	v_sub_f16_e32 v66, v68, v70
	v_add_f16_e32 v70, v78, v79
	v_fma_f16 v86, v75, s14, v86
	v_add_f16_e32 v64, v64, v66
	v_fma_f16 v68, v73, s13, v72
	v_fma_f16 v70, v70, -0.5, v63
	v_sub_f16_e32 v72, v65, v71
	v_fma_f16 v66, v64, s12, v86
	v_fma_f16 v68, v75, s0, v68
	;; [unrolled: 1-line block ×3, first 2 shown]
	v_sub_f16_e32 v75, v67, v69
	v_sub_f16_e32 v86, v76, v78
	;; [unrolled: 1-line block ×3, first 2 shown]
	v_fma_f16 v70, v72, s13, v70
	v_fma_f16 v73, v75, s0, v73
	v_add_f16_e32 v86, v86, v88
	v_fma_f16 v70, v75, s14, v70
	v_fma_f16 v73, v86, s12, v73
	;; [unrolled: 1-line block ×3, first 2 shown]
	v_add_f16_e32 v86, v76, v80
	v_fma_f16 v64, v64, s12, v68
	v_add_f16_e32 v68, v63, v76
	v_fma_f16 v63, v86, -0.5, v63
	v_add_f16_e32 v68, v68, v78
	v_fma_f16 v86, v75, s13, v63
	v_fma_f16 v63, v75, s1, v63
	v_add_f16_e32 v75, v67, v69
	v_add_f16_e32 v68, v68, v79
	v_sub_f16_e32 v88, v78, v76
	v_sub_f16_e32 v89, v79, v80
	v_fma_f16 v75, v75, -0.5, v77
	v_sub_f16_e32 v76, v76, v80
	v_add_f16_e32 v68, v68, v80
	v_fma_f16 v86, v72, s0, v86
	v_add_f16_e32 v88, v88, v89
	v_fma_f16 v63, v72, s14, v63
	v_fma_f16 v80, v76, s13, v75
	v_sub_f16_e32 v78, v78, v79
	v_fma_f16 v86, v88, s12, v86
	v_fma_f16 v63, v88, s12, v63
	;; [unrolled: 1-line block ×3, first 2 shown]
	v_sub_f16_e32 v80, v65, v67
	v_sub_f16_e32 v88, v71, v69
	v_fma_f16 v75, v76, s1, v75
	v_add_f16_e32 v80, v80, v88
	v_fma_f16 v75, v78, s0, v75
	v_add_f16_e32 v72, v77, v65
	v_fma_f16 v79, v80, s12, v79
	v_fma_f16 v75, v80, s12, v75
	v_add_f16_e32 v80, v65, v71
	v_add_f16_e32 v72, v72, v67
	v_fma_f16 v77, v80, -0.5, v77
	v_add_f16_e32 v72, v72, v69
	v_fma_f16 v80, v78, s1, v77
	v_sub_f16_e32 v65, v67, v65
	v_sub_f16_e32 v67, v69, v71
	v_fma_f16 v69, v78, s13, v77
	v_pack_b32_f16 v62, v62, v64
	v_add_f16_e32 v72, v72, v71
	v_fma_f16 v80, v76, s14, v80
	v_add_f16_e32 v65, v65, v67
	v_fma_f16 v69, v76, s0, v69
	ds_write_b32 v49, v62 offset:2640
	v_pack_b32_f16 v62, v83, v82
	v_fma_f16 v67, v65, s12, v80
	v_fma_f16 v65, v65, s12, v69
	v_pack_b32_f16 v69, v81, v84
	v_pack_b32_f16 v71, v85, v74
	;; [unrolled: 1-line block ×3, first 2 shown]
	ds_write_b32 v49, v62 offset:3520
	v_pack_b32_f16 v62, v68, v72
	ds_write_b32 v49, v71 offset:880
	ds_write_b32 v49, v66 offset:1760
	ds_write2_b32 v49, v69, v62 offset1:110
	v_pack_b32_f16 v62, v73, v79
	ds_write_b32 v49, v62 offset:1320
	v_pack_b32_f16 v62, v86, v67
	ds_write_b32 v49, v62 offset:2200
	;; [unrolled: 2-line block ×3, first 2 shown]
	v_pack_b32_f16 v62, v70, v75
	s_movk_i32 s0, 0x1000
	ds_write_b32 v49, v62 offset:3960
	v_add_co_u32_e64 v62, s[0:1], s0, v30
	s_waitcnt lgkmcnt(0)
	s_nop 0
	v_addc_co_u32_e64 v63, s[0:1], 0, v31, s[0:1]
	s_barrier
	global_load_dword v62, v[62:63], off offset:304
	s_mov_b64 s[0:1], 0x1130
	v_lshl_add_u64 v[30:31], v[30:31], 0, s[0:1]
	global_load_dword v64, v[30:31], off offset:2200
	global_load_dword v66, v[30:31], off offset:440
	;; [unrolled: 1-line block ×9, first 2 shown]
	ds_read2_b32 v[30:31], v49 offset1:110
	s_waitcnt lgkmcnt(0)
	v_lshrrev_b32_e32 v63, 16, v30
	s_waitcnt vmcnt(9)
	v_mul_f16_sdwa v65, v63, v62 dst_sel:DWORD dst_unused:UNUSED_PAD src0_sel:DWORD src1_sel:WORD_1
	v_fma_f16 v65, v30, v62, -v65
	v_mul_f16_sdwa v30, v30, v62 dst_sel:DWORD dst_unused:UNUSED_PAD src0_sel:DWORD src1_sel:WORD_1
	v_fma_f16 v30, v63, v62, v30
	v_pack_b32_f16 v30, v65, v30
	ds_write_b32 v49, v30
	ds_read2_b32 v[62:63], v39 offset0:56 offset1:166
	s_waitcnt lgkmcnt(0)
	v_lshrrev_b32_e32 v30, 16, v63
	s_waitcnt vmcnt(8)
	v_mul_f16_sdwa v65, v30, v64 dst_sel:DWORD dst_unused:UNUSED_PAD src0_sel:DWORD src1_sel:WORD_1
	v_fma_f16 v65, v63, v64, -v65
	v_mul_f16_sdwa v63, v63, v64 dst_sel:DWORD dst_unused:UNUSED_PAD src0_sel:DWORD src1_sel:WORD_1
	v_fma_f16 v30, v30, v64, v63
	v_pack_b32_f16 v74, v65, v30
	ds_read2_b32 v[64:65], v38 offset0:20 offset1:130
	v_lshrrev_b32_e32 v30, 16, v31
	s_waitcnt vmcnt(7)
	v_mul_f16_sdwa v63, v30, v66 dst_sel:DWORD dst_unused:UNUSED_PAD src0_sel:DWORD src1_sel:WORD_1
	v_fma_f16 v63, v31, v66, -v63
	v_mul_f16_sdwa v31, v31, v66 dst_sel:DWORD dst_unused:UNUSED_PAD src0_sel:DWORD src1_sel:WORD_1
	v_fma_f16 v30, v30, v66, v31
	v_pack_b32_f16 v66, v63, v30
	s_waitcnt lgkmcnt(0)
	v_lshrrev_b32_e32 v63, 16, v64
	s_waitcnt vmcnt(6)
	v_mul_f16_sdwa v30, v63, v67 dst_sel:DWORD dst_unused:UNUSED_PAD src0_sel:DWORD src1_sel:WORD_1
	v_fma_f16 v75, v64, v67, -v30
	ds_read2_b32 v[30:31], v61 offset0:92 offset1:202
	v_mul_f16_sdwa v64, v64, v67 dst_sel:DWORD dst_unused:UNUSED_PAD src0_sel:DWORD src1_sel:WORD_1
	v_fma_f16 v63, v63, v67, v64
	v_pack_b32_f16 v64, v75, v63
	v_add_u32_e32 v63, 0x800, v49
	ds_write2_b32 v63, v74, v64 offset0:38 offset1:148
	s_waitcnt lgkmcnt(1)
	v_lshrrev_b32_e32 v64, 16, v30
	s_waitcnt vmcnt(5)
	v_mul_f16_sdwa v67, v64, v68 dst_sel:DWORD dst_unused:UNUSED_PAD src0_sel:DWORD src1_sel:WORD_1
	v_fma_f16 v67, v30, v68, -v67
	v_mul_f16_sdwa v30, v30, v68 dst_sel:DWORD dst_unused:UNUSED_PAD src0_sel:DWORD src1_sel:WORD_1
	v_fma_f16 v30, v64, v68, v30
	v_pack_b32_f16 v30, v67, v30
	ds_write2_b32 v49, v66, v30 offset0:110 offset1:220
	v_lshrrev_b32_e32 v30, 16, v65
	s_waitcnt vmcnt(4)
	v_mul_f16_sdwa v64, v30, v69 dst_sel:DWORD dst_unused:UNUSED_PAD src0_sel:DWORD src1_sel:WORD_1
	v_fma_f16 v64, v65, v69, -v64
	v_mul_f16_sdwa v65, v65, v69 dst_sel:DWORD dst_unused:UNUSED_PAD src0_sel:DWORD src1_sel:WORD_1
	v_fma_f16 v30, v30, v69, v65
	v_pack_b32_f16 v30, v64, v30
	ds_read2_b32 v[64:65], v60 offset0:112 offset1:222
	v_lshrrev_b32_e32 v66, 16, v31
	s_waitcnt vmcnt(3)
	v_mul_f16_sdwa v67, v66, v70 dst_sel:DWORD dst_unused:UNUSED_PAD src0_sel:DWORD src1_sel:WORD_1
	v_fma_f16 v67, v31, v70, -v67
	v_mul_f16_sdwa v31, v31, v70 dst_sel:DWORD dst_unused:UNUSED_PAD src0_sel:DWORD src1_sel:WORD_1
	v_fma_f16 v31, v66, v70, v31
	s_waitcnt lgkmcnt(0)
	v_lshrrev_b32_e32 v66, 16, v64
	v_pack_b32_f16 v31, v67, v31
	s_waitcnt vmcnt(2)
	v_mul_f16_sdwa v67, v66, v71 dst_sel:DWORD dst_unused:UNUSED_PAD src0_sel:DWORD src1_sel:WORD_1
	v_fma_f16 v67, v64, v71, -v67
	v_mul_f16_sdwa v64, v64, v71 dst_sel:DWORD dst_unused:UNUSED_PAD src0_sel:DWORD src1_sel:WORD_1
	v_fma_f16 v64, v66, v71, v64
	v_pack_b32_f16 v64, v67, v64
	ds_write2_b32 v60, v30, v64 offset0:2 offset1:112
	v_lshrrev_b32_e32 v30, 16, v62
	s_waitcnt vmcnt(1)
	v_mul_f16_sdwa v64, v30, v72 dst_sel:DWORD dst_unused:UNUSED_PAD src0_sel:DWORD src1_sel:WORD_1
	v_fma_f16 v64, v62, v72, -v64
	v_mul_f16_sdwa v62, v62, v72 dst_sel:DWORD dst_unused:UNUSED_PAD src0_sel:DWORD src1_sel:WORD_1
	v_fma_f16 v30, v30, v72, v62
	v_pack_b32_f16 v30, v64, v30
	v_add_u32_e32 v67, 0x400, v49
	ds_write2_b32 v67, v31, v30 offset0:74 offset1:184
	v_lshrrev_b32_e32 v30, 16, v65
	s_waitcnt vmcnt(0)
	v_mul_f16_sdwa v31, v30, v73 dst_sel:DWORD dst_unused:UNUSED_PAD src0_sel:DWORD src1_sel:WORD_1
	v_mul_f16_sdwa v62, v65, v73 dst_sel:DWORD dst_unused:UNUSED_PAD src0_sel:DWORD src1_sel:WORD_1
	v_fma_f16 v31, v65, v73, -v31
	v_fma_f16 v30, v30, v73, v62
	v_pack_b32_f16 v30, v31, v30
	ds_write_b32 v49, v30 offset:3960
	s_waitcnt lgkmcnt(0)
	s_barrier
	ds_read2_b32 v[30:31], v49 offset1:110
	ds_read2_b32 v[64:65], v39 offset0:56 offset1:166
	ds_read2_b32 v[68:69], v38 offset0:20 offset1:130
	;; [unrolled: 1-line block ×4, first 2 shown]
	s_waitcnt lgkmcnt(0)
	v_pk_add_f16 v71, v30, v65 neg_lo:[0,1] neg_hi:[0,1]
	v_pk_add_f16 v77, v31, v68 neg_lo:[0,1] neg_hi:[0,1]
	v_pk_fma_f16 v70, v30, 2.0, v71 op_sel_hi:[1,0,1] neg_lo:[0,0,1] neg_hi:[0,0,1]
	v_pk_fma_f16 v76, v31, 2.0, v77 op_sel_hi:[1,0,1] neg_lo:[0,0,1] neg_hi:[0,0,1]
	v_pk_add_f16 v31, v72, v69 neg_lo:[0,1] neg_hi:[0,1]
	v_pk_add_f16 v69, v73, v74 neg_lo:[0,1] neg_hi:[0,1]
	;; [unrolled: 1-line block ×3, first 2 shown]
	v_pk_fma_f16 v30, v72, 2.0, v31 op_sel_hi:[1,0,1] neg_lo:[0,0,1] neg_hi:[0,0,1]
	v_pk_fma_f16 v68, v73, 2.0, v69 op_sel_hi:[1,0,1] neg_lo:[0,0,1] neg_hi:[0,0,1]
	;; [unrolled: 1-line block ×3, first 2 shown]
	s_barrier
	ds_write_b64 v32, v[70:71]
	ds_write_b64 v34, v[76:77]
	;; [unrolled: 1-line block ×5, first 2 shown]
	s_waitcnt lgkmcnt(0)
	s_barrier
	ds_read2_b32 v[34:35], v49 offset1:110
	ds_read2_b32 v[72:73], v39 offset0:56 offset1:166
	ds_read2_b32 v[30:31], v38 offset0:20 offset1:130
	ds_read2_b32 v[38:39], v61 offset0:92 offset1:202
	ds_read2_b32 v[36:37], v60 offset0:112 offset1:222
	s_waitcnt lgkmcnt(0)
	v_lshrrev_b32_e32 v32, 16, v34
	v_lshrrev_b32_e32 v62, 16, v73
	v_mul_f16_sdwa v71, v33, v62 dst_sel:DWORD dst_unused:UNUSED_PAD src0_sel:WORD_1 src1_sel:DWORD
	v_lshrrev_b32_e32 v65, 16, v30
	v_fma_f16 v71, v33, v73, v71
	v_mul_f16_sdwa v73, v33, v73 dst_sel:DWORD dst_unused:UNUSED_PAD src0_sel:WORD_1 src1_sel:DWORD
	v_fma_f16 v62, v33, v62, -v73
	v_mul_f16_sdwa v73, v33, v65 dst_sel:DWORD dst_unused:UNUSED_PAD src0_sel:WORD_1 src1_sel:DWORD
	v_lshrrev_b32_e32 v66, 16, v31
	v_fma_f16 v73, v33, v30, v73
	v_mul_f16_sdwa v30, v33, v30 dst_sel:DWORD dst_unused:UNUSED_PAD src0_sel:WORD_1 src1_sel:DWORD
	v_fma_f16 v65, v33, v65, -v30
	;; [unrolled: 5-line block ×4, first 2 shown]
	v_mul_f16_sdwa v30, v33, v70 dst_sel:DWORD dst_unused:UNUSED_PAD src0_sel:WORD_1 src1_sel:DWORD
	v_lshrrev_b32_e32 v64, 16, v35
	v_fma_f16 v80, v33, v37, v30
	v_mul_f16_sdwa v30, v33, v37 dst_sel:DWORD dst_unused:UNUSED_PAD src0_sel:WORD_1 src1_sel:DWORD
	v_sub_f16_e32 v37, v35, v73
	v_lshrrev_b32_e32 v68, 16, v38
	v_lshrrev_b32_e32 v74, 16, v39
	;; [unrolled: 1-line block ×3, first 2 shown]
	v_fma_f16 v81, v33, v70, -v30
	v_sub_f16_e32 v31, v34, v71
	v_sub_f16_e32 v71, v32, v62
	v_sub_f16_e32 v66, v64, v65
	v_fma_f16 v36, v35, 2.0, -v37
	v_sub_f16_e32 v35, v39, v78
	v_fma_f16 v30, v34, 2.0, -v31
	v_fma_f16 v62, v32, 2.0, -v71
	;; [unrolled: 1-line block ×3, first 2 shown]
	v_sub_f16_e32 v33, v38, v76
	v_sub_f16_e32 v64, v68, v77
	;; [unrolled: 1-line block ×3, first 2 shown]
	v_fma_f16 v34, v39, 2.0, -v35
	v_sub_f16_e32 v39, v72, v80
	v_sub_f16_e32 v73, v75, v81
	v_fma_f16 v32, v38, 2.0, -v33
	v_fma_f16 v65, v68, 2.0, -v64
	;; [unrolled: 1-line block ×5, first 2 shown]
	v_pack_b32_f16 v74, v30, v62
	v_pack_b32_f16 v75, v31, v71
	s_barrier
	ds_write2_b32 v51, v74, v75 offset1:2
	v_pack_b32_f16 v51, v36, v69
	v_pack_b32_f16 v74, v37, v66
	ds_write2_b32 v52, v51, v74 offset1:2
	v_pack_b32_f16 v51, v32, v65
	v_pack_b32_f16 v52, v33, v64
	;; [unrolled: 3-line block ×4, first 2 shown]
	ds_write2_b32 v55, v51, v52 offset1:2
	s_waitcnt lgkmcnt(0)
	s_barrier
	s_and_saveexec_b64 s[0:1], vcc
	s_cbranch_execz .LBB0_7
; %bb.6:
	ds_read2_b32 v[30:31], v49 offset1:100
	ds_read2_b32 v[36:37], v61 offset0:72 offset1:172
	ds_read2_b32 v[32:33], v67 offset0:144 offset1:244
	;; [unrolled: 1-line block ×4, first 2 shown]
	ds_read_b32 v58, v49 offset:4000
	s_waitcnt lgkmcnt(5)
	v_lshrrev_b32_e32 v62, 16, v30
	v_lshrrev_b32_e32 v71, 16, v31
	s_waitcnt lgkmcnt(4)
	v_lshrrev_b32_e32 v69, 16, v36
	v_lshrrev_b32_e32 v66, 16, v37
	;; [unrolled: 3-line block ×5, first 2 shown]
	s_waitcnt lgkmcnt(0)
	v_lshrrev_b32_e32 v59, 16, v58
.LBB0_7:
	s_or_b64 exec, exec, s[0:1]
	s_barrier
	s_and_saveexec_b64 s[0:1], vcc
	s_cbranch_execz .LBB0_9
; %bb.8:
	v_mul_f16_sdwa v51, v0, v71 dst_sel:DWORD dst_unused:UNUSED_PAD src0_sel:WORD_1 src1_sel:DWORD
	v_mul_f16_sdwa v52, v29, v59 dst_sel:DWORD dst_unused:UNUSED_PAD src0_sel:WORD_1 src1_sel:DWORD
	v_mul_f16_sdwa v55, v29, v58 dst_sel:DWORD dst_unused:UNUSED_PAD src0_sel:WORD_1 src1_sel:DWORD
	v_fma_f16 v51, v0, v31, v51
	v_fma_f16 v52, v29, v58, v52
	v_fma_f16 v29, v29, v59, -v55
	v_mul_f16_sdwa v31, v0, v31 dst_sel:DWORD dst_unused:UNUSED_PAD src0_sel:WORD_1 src1_sel:DWORD
	v_mul_f16_sdwa v58, v1, v69 dst_sel:DWORD dst_unused:UNUSED_PAD src0_sel:WORD_1 src1_sel:DWORD
	;; [unrolled: 1-line block ×3, first 2 shown]
	v_sub_f16_e32 v53, v51, v52
	v_fma_f16 v0, v0, v71, -v31
	v_fma_f16 v58, v1, v36, v58
	v_fma_f16 v59, v28, v39, v59
	v_mul_f16_sdwa v39, v28, v39 dst_sel:DWORD dst_unused:UNUSED_PAD src0_sel:WORD_1 src1_sel:DWORD
	v_mul_f16_sdwa v36, v1, v36 dst_sel:DWORD dst_unused:UNUSED_PAD src0_sel:WORD_1 src1_sel:DWORD
	v_mul_f16_e32 v54, 0xbb47, v53
	v_add_f16_e32 v31, v29, v0
	s_movk_i32 s8, 0x36a6
	v_sub_f16_e32 v60, v58, v59
	v_fma_f16 v28, v28, v73, -v39
	v_fma_f16 v1, v1, v69, -v36
	v_fma_f16 v55, v31, s8, v54
	v_mul_f16_e32 v61, 0xba0c, v60
	v_add_f16_e32 v36, v28, v1
	s_mov_b32 s10, 0xb93d
	v_add_f16_e32 v55, v62, v55
	v_fma_f16 v39, v36, s10, v61
	v_add_f16_e32 v39, v39, v55
	v_mul_f16_sdwa v55, v2, v66 dst_sel:DWORD dst_unused:UNUSED_PAD src0_sel:WORD_1 src1_sel:DWORD
	v_mul_f16_sdwa v63, v7, v72 dst_sel:DWORD dst_unused:UNUSED_PAD src0_sel:WORD_1 src1_sel:DWORD
	v_fma_f16 v55, v2, v37, v55
	v_fma_f16 v63, v7, v38, v63
	v_mul_f16_sdwa v38, v7, v38 dst_sel:DWORD dst_unused:UNUSED_PAD src0_sel:WORD_1 src1_sel:DWORD
	v_mul_f16_sdwa v37, v2, v37 dst_sel:DWORD dst_unused:UNUSED_PAD src0_sel:WORD_1 src1_sel:DWORD
	v_sub_f16_e32 v67, v55, v63
	v_fma_f16 v7, v7, v72, -v38
	v_fma_f16 v2, v2, v66, -v37
	v_mul_f16_e32 v69, 0x3482, v67
	v_add_f16_e32 v37, v7, v2
	s_mov_b32 s12, 0xbbad
	v_fma_f16 v38, v37, s12, v69
	v_add_f16_e32 v38, v38, v39
	v_mul_f16_sdwa v39, v3, v65 dst_sel:DWORD dst_unused:UNUSED_PAD src0_sel:WORD_1 src1_sel:DWORD
	v_mul_f16_sdwa v66, v6, v70 dst_sel:DWORD dst_unused:UNUSED_PAD src0_sel:WORD_1 src1_sel:DWORD
	v_fma_f16 v39, v3, v32, v39
	v_fma_f16 v66, v6, v35, v66
	v_mul_f16_sdwa v35, v6, v35 dst_sel:DWORD dst_unused:UNUSED_PAD src0_sel:WORD_1 src1_sel:DWORD
	v_mul_f16_sdwa v32, v3, v32 dst_sel:DWORD dst_unused:UNUSED_PAD src0_sel:WORD_1 src1_sel:DWORD
	v_sub_f16_e32 v71, v39, v66
	v_fma_f16 v6, v6, v70, -v35
	v_fma_f16 v3, v3, v65, -v32
	v_mul_f16_e32 v72, 0x3beb, v71
	v_add_f16_e32 v32, v6, v3
	s_mov_b32 s13, 0xb08e
	v_fma_f16 v35, v32, s13, v72
	v_add_f16_e32 v35, v35, v38
	v_mul_f16_sdwa v38, v4, v64 dst_sel:DWORD dst_unused:UNUSED_PAD src0_sel:WORD_1 src1_sel:DWORD
	v_mul_f16_sdwa v65, v5, v68 dst_sel:DWORD dst_unused:UNUSED_PAD src0_sel:WORD_1 src1_sel:DWORD
	v_fma_f16 v38, v4, v33, v38
	v_fma_f16 v65, v5, v34, v65
	v_mul_f16_sdwa v34, v5, v34 dst_sel:DWORD dst_unused:UNUSED_PAD src0_sel:WORD_1 src1_sel:DWORD
	v_mul_f16_sdwa v33, v4, v33 dst_sel:DWORD dst_unused:UNUSED_PAD src0_sel:WORD_1 src1_sel:DWORD
	v_sub_f16_e32 v70, v38, v65
	v_fma_f16 v5, v5, v68, -v34
	v_fma_f16 v4, v4, v64, -v33
	v_mul_f16_e32 v73, 0x3853, v70
	v_add_f16_e32 v33, v5, v4
	s_movk_i32 s14, 0x3abb
	v_fma_f16 v34, v33, s14, v73
	v_sub_f16_e32 v64, v0, v29
	v_add_f16_e32 v34, v34, v35
	v_add_f16_e32 v35, v52, v51
	v_mul_f16_e32 v68, 0xbb47, v64
	v_sub_f16_e32 v76, v1, v28
	v_fma_f16 v74, v35, s8, -v68
	v_add_f16_e32 v75, v59, v58
	v_mul_f16_e32 v77, 0xba0c, v76
	v_add_f16_e32 v74, v30, v74
	v_fma_f16 v78, v75, s10, -v77
	v_sub_f16_e32 v79, v2, v7
	v_add_f16_e32 v74, v78, v74
	v_add_f16_e32 v78, v63, v55
	v_mul_f16_e32 v80, 0x3482, v79
	v_fma_f16 v81, v78, s12, -v80
	v_sub_f16_e32 v82, v3, v6
	v_add_f16_e32 v74, v81, v74
	v_add_f16_e32 v81, v66, v39
	v_mul_f16_e32 v83, 0x3beb, v82
	;; [unrolled: 5-line block ×3, first 2 shown]
	v_fma_f16 v87, v84, s14, -v86
	v_add_f16_e32 v74, v87, v74
	v_mul_f16_e32 v87, 0xbbeb, v53
	v_fma_f16 v88, v31, s13, v87
	v_mul_f16_e32 v89, 0x3482, v60
	v_add_f16_e32 v88, v62, v88
	v_fma_f16 v90, v36, s12, v89
	v_add_f16_e32 v88, v90, v88
	v_mul_f16_e32 v90, 0x3b47, v67
	v_fma_f16 v91, v37, s8, v90
	v_add_f16_e32 v88, v91, v88
	v_mul_f16_e32 v91, 0xb853, v71
	;; [unrolled: 3-line block ×4, first 2 shown]
	v_fma_f16 v94, v35, s13, -v93
	v_mul_f16_e32 v95, 0x3482, v76
	v_add_f16_e32 v94, v30, v94
	v_fma_f16 v96, v75, s12, -v95
	v_add_f16_e32 v94, v96, v94
	v_mul_f16_e32 v96, 0x3b47, v79
	v_fma_f16 v97, v78, s8, -v96
	v_add_f16_e32 v94, v97, v94
	v_mul_f16_e32 v97, 0xb853, v82
	;; [unrolled: 3-line block ×4, first 2 shown]
	v_fma_f16 v100, v31, s10, v99
	v_mul_f16_e32 v101, 0x3beb, v60
	v_add_f16_e32 v100, v62, v100
	v_fma_f16 v102, v36, s13, v101
	v_add_f16_e32 v100, v102, v100
	v_mul_f16_e32 v102, 0xb853, v67
	v_fma_f16 v103, v37, s14, v102
	v_add_f16_e32 v100, v103, v100
	v_mul_f16_e32 v103, 0xb482, v71
	;; [unrolled: 3-line block ×4, first 2 shown]
	v_fma_f16 v106, v35, s10, -v105
	v_mul_f16_e32 v107, 0x3beb, v76
	v_add_f16_e32 v106, v30, v106
	v_fma_f16 v108, v75, s13, -v107
	v_add_f16_e32 v106, v108, v106
	v_mul_f16_e32 v108, 0xb853, v79
	v_fma_f16 v109, v78, s14, -v108
	v_fma_f16 v54, v31, s8, -v54
	v_add_f16_e32 v106, v109, v106
	v_mul_f16_e32 v109, 0xb482, v82
	v_add_f16_e32 v54, v62, v54
	v_fma_f16 v61, v36, s10, -v61
	v_fma_f16 v110, v81, s12, -v109
	v_add_f16_e32 v54, v61, v54
	v_fma_f16 v61, v37, s12, -v69
	v_add_f16_e32 v106, v110, v106
	v_mul_f16_e32 v110, 0x3b47, v85
	v_add_f16_e32 v54, v61, v54
	v_fma_f16 v61, v32, s13, -v72
	v_fma_f16 v111, v84, s8, -v110
	v_add_f16_e32 v54, v61, v54
	v_fma_f16 v61, v33, s14, -v73
	v_add_f16_e32 v106, v111, v106
	v_mul_f16_e32 v111, 0xb482, v53
	v_add_f16_e32 v54, v61, v54
	v_fma_f16 v61, v35, s8, v68
	v_fma_f16 v112, v31, s12, v111
	v_mul_f16_e32 v113, 0x3853, v60
	v_add_f16_e32 v61, v30, v61
	v_fma_f16 v68, v75, s10, v77
	v_add_f16_e32 v112, v62, v112
	v_fma_f16 v114, v36, s14, v113
	;; [unrolled: 2-line block ×3, first 2 shown]
	v_add_f16_e32 v112, v114, v112
	v_mul_f16_e32 v114, 0xba0c, v67
	v_add_f16_e32 v61, v68, v61
	v_fma_f16 v68, v81, s13, v83
	s_movk_i32 s19, 0x3853
	v_fma_f16 v115, v37, s10, v114
	v_fma_f16 v111, v31, s12, -v111
	v_fma_f16 v99, v31, s10, -v99
	;; [unrolled: 1-line block ×3, first 2 shown]
	v_add_f16_e32 v61, v68, v61
	v_fma_f16 v68, v84, s14, v86
	v_mul_f16_e32 v31, 0x3abb, v31
	s_movk_i32 s20, 0x3b47
	v_add_f16_e32 v112, v115, v112
	v_mul_f16_e32 v115, 0x3b47, v71
	v_add_f16_e32 v111, v62, v111
	v_fma_f16 v113, v36, s14, -v113
	v_add_f16_e32 v99, v62, v99
	v_fma_f16 v101, v36, s13, -v101
	;; [unrolled: 2-line block ×3, first 2 shown]
	v_add_f16_e32 v61, v68, v61
	v_fma_f16 v68, v53, s19, v31
	v_mul_f16_e32 v36, 0x36a6, v36
	s_movk_i32 s16, 0x3beb
	v_fma_f16 v116, v32, s8, v115
	v_add_f16_e32 v111, v113, v111
	v_fma_f16 v113, v37, s10, -v114
	v_add_f16_e32 v99, v101, v99
	v_fma_f16 v101, v37, s14, -v102
	;; [unrolled: 2-line block ×3, first 2 shown]
	v_add_f16_e32 v68, v62, v68
	v_fma_f16 v69, v60, s20, v36
	v_mul_f16_e32 v37, 0xb08e, v37
	s_mov_b32 s18, 0xb853
	v_add_f16_e32 v112, v116, v112
	v_mul_f16_e32 v116, 0xbbeb, v70
	v_add_f16_e32 v111, v113, v111
	v_fma_f16 v113, v32, s8, -v115
	v_add_f16_e32 v99, v101, v99
	v_fma_f16 v101, v32, s12, -v103
	;; [unrolled: 2-line block ×3, first 2 shown]
	v_add_f16_e32 v68, v69, v68
	v_fma_f16 v69, v67, s16, v37
	v_mul_f16_e32 v32, 0xb93d, v32
	s_movk_i32 s16, 0x3a0c
	v_add_f16_e32 v0, v0, v62
	s_mov_b32 s9, 0xbb47
	s_movk_i32 s15, 0x3482
	v_fma_f16 v117, v33, s13, v116
	v_add_f16_e32 v111, v113, v111
	v_fma_f16 v113, v33, s13, -v116
	v_add_f16_e32 v99, v101, v99
	v_fma_f16 v101, v33, s8, -v104
	v_add_f16_e32 v87, v89, v87
	v_fma_f16 v89, v33, s10, -v92
	v_add_f16_e32 v68, v69, v68
	v_fma_f16 v69, v71, s16, v32
	v_mul_f16_e32 v33, 0xbbad, v33
	v_add_f16_e32 v0, v1, v0
	v_fma_f16 v1, v53, s18, v31
	s_mov_b32 s17, 0xbbeb
	v_add_f16_e32 v112, v117, v112
	v_mul_f16_e32 v117, 0xb482, v64
	v_add_f16_e32 v68, v69, v68
	v_fma_f16 v69, v70, s15, v33
	v_mul_f16_e32 v64, 0xb853, v64
	v_add_f16_e32 v0, v2, v0
	v_add_f16_e32 v1, v62, v1
	v_fma_f16 v2, v60, s9, v36
	s_mov_b32 s11, 0xba0c
	v_add_f16_e32 v68, v69, v68
	v_fma_f16 v69, v35, s14, v64
	v_mul_f16_e32 v72, 0xbb47, v76
	v_add_f16_e32 v51, v30, v51
	v_add_f16_e32 v1, v2, v1
	v_fma_f16 v2, v67, s17, v37
	v_add_f16_e32 v69, v30, v69
	v_fma_f16 v73, v75, s8, v72
	v_add_f16_e32 v51, v58, v51
	v_add_f16_e32 v1, v2, v1
	v_fma_f16 v2, v71, s11, v32
	v_add_f16_e32 v69, v73, v69
	v_mul_f16_e32 v73, 0xbbeb, v79
	v_add_f16_e32 v51, v55, v51
	v_add_f16_e32 v1, v2, v1
	v_fma_f16 v2, v70, s21, v33
	v_fma_f16 v118, v35, s12, -v117
	v_mul_f16_e32 v119, 0x3853, v76
	v_fma_f16 v76, v78, s13, v73
	v_add_f16_e32 v39, v39, v51
	v_add_f16_e32 v0, v3, v0
	;; [unrolled: 1-line block ×3, first 2 shown]
	v_fma_f16 v2, v35, s14, -v64
	v_add_f16_e32 v118, v30, v118
	v_fma_f16 v120, v75, s14, -v119
	v_add_f16_e32 v69, v76, v69
	v_mul_f16_e32 v76, 0xba0c, v82
	v_add_f16_e32 v38, v38, v39
	v_add_f16_e32 v0, v4, v0
	;; [unrolled: 1-line block ×3, first 2 shown]
	v_fma_f16 v3, v75, s8, -v72
	v_add_f16_e32 v118, v120, v118
	v_mul_f16_e32 v120, 0xba0c, v79
	v_add_f16_e32 v87, v89, v87
	v_fma_f16 v89, v35, s13, v93
	v_fma_f16 v77, v81, s10, v76
	v_add_f16_e32 v38, v65, v38
	v_add_f16_e32 v0, v5, v0
	;; [unrolled: 1-line block ×3, first 2 shown]
	v_fma_f16 v3, v78, s13, -v73
	v_fma_f16 v121, v78, s10, -v120
	v_add_f16_e32 v111, v113, v111
	v_fma_f16 v113, v35, s12, v117
	v_add_f16_e32 v99, v101, v99
	v_fma_f16 v101, v35, s10, v105
	;; [unrolled: 2-line block ×3, first 2 shown]
	v_add_f16_e32 v69, v77, v69
	v_mul_f16_e32 v77, 0xb482, v85
	v_add_f16_e32 v38, v66, v38
	v_add_f16_e32 v0, v6, v0
	;; [unrolled: 1-line block ×3, first 2 shown]
	v_fma_f16 v3, v81, s10, -v76
	v_add_f16_e32 v118, v121, v118
	v_mul_f16_e32 v121, 0x3b47, v82
	v_add_f16_e32 v113, v30, v113
	v_fma_f16 v114, v75, s14, v119
	v_add_f16_e32 v101, v30, v101
	v_fma_f16 v102, v75, s13, v107
	;; [unrolled: 2-line block ×3, first 2 shown]
	v_add_f16_e32 v38, v63, v38
	v_add_f16_e32 v0, v7, v0
	;; [unrolled: 1-line block ×3, first 2 shown]
	v_fma_f16 v3, v84, s12, -v77
	v_fma_f16 v122, v81, s8, -v121
	v_add_f16_e32 v113, v114, v113
	v_fma_f16 v114, v78, s10, v120
	v_add_f16_e32 v101, v102, v101
	v_fma_f16 v102, v78, s14, v108
	;; [unrolled: 2-line block ×3, first 2 shown]
	v_fma_f16 v79, v84, s12, v77
	v_add_f16_e32 v38, v59, v38
	v_add_f16_e32 v0, v28, v0
	v_add_f16_e32 v2, v3, v2
	v_mul_u32_u24_e32 v3, 44, v50
	v_add_f16_e32 v118, v122, v118
	v_mul_f16_e32 v122, 0xbbeb, v85
	v_add_f16_e32 v113, v114, v113
	v_fma_f16 v114, v81, s8, v121
	v_add_f16_e32 v101, v102, v101
	v_fma_f16 v102, v81, s12, v109
	;; [unrolled: 2-line block ×3, first 2 shown]
	v_add_f16_e32 v69, v79, v69
	v_add_f16_e32 v38, v52, v38
	;; [unrolled: 1-line block ×3, first 2 shown]
	v_or_b32_e32 v3, v3, v25
	v_add_f16_e32 v113, v114, v113
	v_fma_f16 v114, v84, s13, v122
	v_add_f16_e32 v101, v102, v101
	v_fma_f16 v102, v84, s8, v110
	v_add_f16_e32 v89, v90, v89
	v_lshlrev_b32_e32 v3, 2, v3
	v_pack_b32_f16 v0, v38, v0
	v_pack_b32_f16 v4, v69, v68
	v_fma_f16 v123, v84, s13, -v122
	v_add_f16_e32 v113, v114, v113
	v_add_f16_e32 v101, v102, v101
	ds_write2_b32 v3, v0, v4 offset1:4
	v_pack_b32_f16 v0, v61, v54
	v_pack_b32_f16 v4, v89, v87
	v_add_f16_e32 v118, v123, v118
	ds_write2_b32 v3, v0, v4 offset0:8 offset1:12
	v_pack_b32_f16 v0, v101, v99
	v_pack_b32_f16 v4, v113, v111
	ds_write2_b32 v3, v0, v4 offset0:16 offset1:20
	v_pack_b32_f16 v0, v118, v112
	v_pack_b32_f16 v4, v106, v100
	;; [unrolled: 3-line block ×3, first 2 shown]
	ds_write2_b32 v3, v0, v4 offset0:32 offset1:36
	v_pack_b32_f16 v0, v2, v1
	ds_write_b32 v3, v0 offset:160
.LBB0_9:
	s_or_b64 exec, exec, s[0:1]
	v_add_u32_e32 v6, 0x200, v49
	s_waitcnt lgkmcnt(0)
	s_barrier
	ds_read2_b32 v[28:29], v6 offset0:92 offset1:202
	v_add_u32_e32 v25, 0x600, v49
	ds_read2_b32 v[30:31], v25 offset0:56 offset1:166
	v_add_u32_e32 v7, 0xa00, v49
	;; [unrolled: 2-line block ×3, first 2 shown]
	ds_read2_b32 v[34:35], v4 offset0:112 offset1:222
	s_waitcnt lgkmcnt(3)
	v_lshrrev_b32_e32 v5, 16, v28
	v_mul_f16_sdwa v54, v8, v5 dst_sel:DWORD dst_unused:UNUSED_PAD src0_sel:WORD_1 src1_sel:DWORD
	s_waitcnt lgkmcnt(2)
	v_lshrrev_b32_e32 v36, 16, v30
	v_fma_f16 v54, v8, v28, v54
	v_mul_f16_sdwa v28, v8, v28 dst_sel:DWORD dst_unused:UNUSED_PAD src0_sel:WORD_1 src1_sel:DWORD
	s_waitcnt lgkmcnt(1)
	v_lshrrev_b32_e32 v37, 16, v32
	v_fma_f16 v5, v8, v5, -v28
	v_mul_f16_sdwa v8, v9, v36 dst_sel:DWORD dst_unused:UNUSED_PAD src0_sel:WORD_1 src1_sel:DWORD
	v_mul_f16_sdwa v28, v9, v30 dst_sel:DWORD dst_unused:UNUSED_PAD src0_sel:WORD_1 src1_sel:DWORD
	s_waitcnt lgkmcnt(0)
	v_lshrrev_b32_e32 v38, 16, v34
	v_fma_f16 v8, v9, v30, v8
	v_fma_f16 v9, v9, v36, -v28
	v_mul_f16_sdwa v28, v10, v37 dst_sel:DWORD dst_unused:UNUSED_PAD src0_sel:WORD_1 src1_sel:DWORD
	v_mul_f16_sdwa v30, v10, v32 dst_sel:DWORD dst_unused:UNUSED_PAD src0_sel:WORD_1 src1_sel:DWORD
	v_lshrrev_b32_e32 v50, 16, v29
	v_fma_f16 v28, v10, v32, v28
	v_fma_f16 v10, v10, v37, -v30
	v_mul_f16_sdwa v30, v11, v38 dst_sel:DWORD dst_unused:UNUSED_PAD src0_sel:WORD_1 src1_sel:DWORD
	v_mul_f16_sdwa v32, v11, v34 dst_sel:DWORD dst_unused:UNUSED_PAD src0_sel:WORD_1 src1_sel:DWORD
	v_fma_f16 v30, v11, v34, v30
	v_fma_f16 v11, v11, v38, -v32
	v_mul_f16_sdwa v32, v12, v50 dst_sel:DWORD dst_unused:UNUSED_PAD src0_sel:WORD_1 src1_sel:DWORD
	v_lshrrev_b32_e32 v51, 16, v31
	v_fma_f16 v32, v12, v29, v32
	v_mul_f16_sdwa v29, v12, v29 dst_sel:DWORD dst_unused:UNUSED_PAD src0_sel:WORD_1 src1_sel:DWORD
	v_fma_f16 v12, v12, v50, -v29
	v_mul_f16_sdwa v29, v13, v51 dst_sel:DWORD dst_unused:UNUSED_PAD src0_sel:WORD_1 src1_sel:DWORD
	ds_read2_b32 v[0:1], v49 offset1:110
	v_lshrrev_b32_e32 v52, 16, v33
	v_fma_f16 v29, v13, v31, v29
	v_mul_f16_sdwa v31, v13, v31 dst_sel:DWORD dst_unused:UNUSED_PAD src0_sel:WORD_1 src1_sel:DWORD
	v_fma_f16 v13, v13, v51, -v31
	v_mul_f16_sdwa v31, v14, v52 dst_sel:DWORD dst_unused:UNUSED_PAD src0_sel:WORD_1 src1_sel:DWORD
	v_lshrrev_b32_e32 v53, 16, v35
	v_fma_f16 v31, v14, v33, v31
	v_mul_f16_sdwa v33, v14, v33 dst_sel:DWORD dst_unused:UNUSED_PAD src0_sel:WORD_1 src1_sel:DWORD
	v_fma_f16 v14, v14, v52, -v33
	v_mul_f16_sdwa v33, v15, v53 dst_sel:DWORD dst_unused:UNUSED_PAD src0_sel:WORD_1 src1_sel:DWORD
	v_fma_f16 v33, v15, v35, v33
	v_mul_f16_sdwa v34, v15, v35 dst_sel:DWORD dst_unused:UNUSED_PAD src0_sel:WORD_1 src1_sel:DWORD
	v_add_f16_e32 v35, v8, v28
	s_waitcnt lgkmcnt(0)
	v_fma_f16 v35, v35, -0.5, v0
	v_sub_f16_e32 v36, v5, v11
	s_mov_b32 s1, 0xbb9c
	s_movk_i32 s8, 0x3b9c
	v_fma_f16 v37, v36, s1, v35
	v_sub_f16_e32 v38, v9, v10
	s_mov_b32 s0, 0xb8b4
	v_sub_f16_e32 v50, v54, v8
	v_sub_f16_e32 v51, v30, v28
	v_fma_f16 v35, v36, s8, v35
	s_movk_i32 s9, 0x38b4
	v_mov_b32_e32 v2, s2
	v_fma_f16 v37, v38, s0, v37
	v_add_f16_e32 v50, v50, v51
	s_movk_i32 s2, 0x34f2
	v_fma_f16 v35, v38, s9, v35
	v_fma_f16 v15, v15, v53, -v34
	v_add_f16_e32 v34, v0, v54
	v_fma_f16 v37, v50, s2, v37
	v_fma_f16 v35, v50, s2, v35
	v_add_f16_e32 v50, v54, v30
	v_lshrrev_b32_e32 v3, 16, v0
	v_add_f16_e32 v34, v34, v8
	v_fma_f16 v0, v50, -0.5, v0
	v_add_f16_e32 v34, v34, v28
	v_fma_f16 v50, v38, s8, v0
	v_sub_f16_e32 v51, v8, v54
	v_sub_f16_e32 v52, v28, v30
	v_fma_f16 v0, v38, s1, v0
	v_add_f16_e32 v38, v9, v10
	v_add_f16_e32 v34, v34, v30
	v_fma_f16 v50, v36, s0, v50
	v_add_f16_e32 v51, v51, v52
	v_fma_f16 v0, v36, s9, v0
	v_fma_f16 v38, v38, -0.5, v3
	v_sub_f16_e32 v30, v54, v30
	v_fma_f16 v50, v51, s2, v50
	v_fma_f16 v0, v51, s2, v0
	;; [unrolled: 1-line block ×3, first 2 shown]
	v_sub_f16_e32 v8, v8, v28
	v_fma_f16 v28, v8, s9, v51
	v_sub_f16_e32 v51, v5, v9
	v_sub_f16_e32 v52, v11, v10
	v_fma_f16 v38, v30, s1, v38
	v_add_f16_e32 v51, v51, v52
	v_fma_f16 v38, v8, s0, v38
	v_fma_f16 v28, v51, s2, v28
	;; [unrolled: 1-line block ×3, first 2 shown]
	v_add_f16_e32 v51, v5, v11
	v_add_f16_e32 v36, v3, v5
	v_fma_f16 v3, v51, -0.5, v3
	v_add_f16_e32 v36, v36, v9
	v_fma_f16 v51, v8, s1, v3
	v_sub_f16_e32 v5, v9, v5
	v_sub_f16_e32 v9, v10, v11
	v_fma_f16 v3, v8, s8, v3
	v_add_f16_e32 v8, v29, v31
	v_add_f16_e32 v36, v36, v10
	v_fma_f16 v51, v30, s9, v51
	v_add_f16_e32 v5, v5, v9
	v_fma_f16 v8, v8, -0.5, v1
	v_sub_f16_e32 v10, v12, v15
	v_add_f16_e32 v36, v36, v11
	v_fma_f16 v9, v5, s2, v51
	v_fma_f16 v3, v30, s0, v3
	;; [unrolled: 1-line block ×3, first 2 shown]
	v_sub_f16_e32 v30, v13, v14
	v_sub_f16_e32 v51, v32, v29
	;; [unrolled: 1-line block ×3, first 2 shown]
	v_fma_f16 v8, v10, s8, v8
	v_fma_f16 v11, v30, s0, v11
	v_add_f16_e32 v51, v51, v52
	v_fma_f16 v8, v30, s9, v8
	v_fma_f16 v11, v51, s2, v11
	;; [unrolled: 1-line block ×3, first 2 shown]
	v_add_f16_e32 v51, v32, v33
	v_lshrrev_b32_e32 v39, 16, v1
	v_fma_f16 v3, v5, s2, v3
	v_add_f16_e32 v5, v1, v32
	v_fma_f16 v1, v51, -0.5, v1
	v_add_f16_e32 v5, v5, v29
	v_fma_f16 v51, v30, s8, v1
	v_fma_f16 v1, v30, s1, v1
	v_add_f16_e32 v30, v13, v14
	v_add_f16_e32 v5, v5, v31
	v_sub_f16_e32 v52, v29, v32
	v_sub_f16_e32 v53, v31, v33
	v_fma_f16 v30, v30, -0.5, v39
	v_sub_f16_e32 v32, v32, v33
	v_add_f16_e32 v5, v5, v33
	v_fma_f16 v51, v10, s0, v51
	v_add_f16_e32 v52, v52, v53
	v_fma_f16 v1, v10, s9, v1
	v_fma_f16 v33, v32, s8, v30
	v_sub_f16_e32 v29, v29, v31
	v_fma_f16 v51, v52, s2, v51
	v_fma_f16 v1, v52, s2, v1
	;; [unrolled: 1-line block ×3, first 2 shown]
	v_sub_f16_e32 v33, v12, v13
	v_sub_f16_e32 v52, v15, v14
	v_fma_f16 v30, v32, s1, v30
	v_add_f16_e32 v33, v33, v52
	v_fma_f16 v30, v29, s0, v30
	v_add_f16_e32 v10, v39, v12
	v_fma_f16 v31, v33, s2, v31
	v_fma_f16 v30, v33, s2, v30
	v_add_f16_e32 v33, v12, v15
	v_add_f16_e32 v10, v10, v13
	v_fma_f16 v33, v33, -0.5, v39
	v_add_f16_e32 v10, v10, v14
	v_fma_f16 v39, v29, s1, v33
	v_sub_f16_e32 v12, v13, v12
	v_sub_f16_e32 v13, v14, v15
	v_fma_f16 v14, v29, s8, v33
	v_pack_b32_f16 v9, v50, v9
	v_pack_b32_f16 v0, v0, v3
	v_add_f16_e32 v10, v10, v15
	v_fma_f16 v39, v32, s9, v39
	v_add_f16_e32 v12, v12, v13
	v_fma_f16 v14, v32, s0, v14
	s_barrier
	ds_write2_b32 v56, v9, v0 offset0:88 offset1:132
	v_pack_b32_f16 v0, v35, v38
	v_fma_f16 v13, v12, s2, v39
	v_fma_f16 v12, v12, s2, v14
	v_pack_b32_f16 v14, v34, v36
	v_pack_b32_f16 v15, v37, v28
	ds_write_b32 v56, v0 offset:704
	v_pack_b32_f16 v0, v5, v10
	v_pack_b32_f16 v3, v11, v31
	ds_write2_b32 v56, v14, v15 offset1:44
	ds_write2_b32 v57, v0, v3 offset1:44
	v_pack_b32_f16 v0, v51, v13
	v_pack_b32_f16 v1, v1, v12
	ds_write2_b32 v57, v0, v1 offset0:88 offset1:132
	v_pack_b32_f16 v0, v8, v30
	ds_write_b32 v57, v0 offset:704
	s_waitcnt lgkmcnt(0)
	s_barrier
	ds_read2_b32 v[0:1], v49 offset1:110
	ds_read2_b32 v[8:9], v6 offset0:92 offset1:202
	ds_read2_b32 v[10:11], v25 offset0:56 offset1:166
	;; [unrolled: 1-line block ×4, first 2 shown]
	s_waitcnt lgkmcnt(4)
	v_lshrrev_b32_e32 v3, 16, v0
	s_waitcnt lgkmcnt(3)
	v_lshrrev_b32_e32 v5, 16, v8
	v_mul_f16_sdwa v36, v16, v5 dst_sel:DWORD dst_unused:UNUSED_PAD src0_sel:WORD_1 src1_sel:DWORD
	s_waitcnt lgkmcnt(2)
	v_lshrrev_b32_e32 v28, 16, v10
	v_fma_f16 v36, v16, v8, v36
	v_mul_f16_sdwa v8, v16, v8 dst_sel:DWORD dst_unused:UNUSED_PAD src0_sel:WORD_1 src1_sel:DWORD
	v_fma_f16 v5, v16, v5, -v8
	v_mul_f16_sdwa v8, v17, v28 dst_sel:DWORD dst_unused:UNUSED_PAD src0_sel:WORD_1 src1_sel:DWORD
	s_waitcnt lgkmcnt(0)
	v_lshrrev_b32_e32 v30, 16, v14
	v_fma_f16 v8, v17, v10, v8
	v_mul_f16_sdwa v10, v17, v10 dst_sel:DWORD dst_unused:UNUSED_PAD src0_sel:WORD_1 src1_sel:DWORD
	v_fma_f16 v10, v17, v28, -v10
	v_mul_f16_sdwa v17, v19, v30 dst_sel:DWORD dst_unused:UNUSED_PAD src0_sel:WORD_1 src1_sel:DWORD
	v_lshrrev_b32_e32 v33, 16, v11
	v_fma_f16 v17, v19, v14, v17
	v_mul_f16_sdwa v14, v19, v14 dst_sel:DWORD dst_unused:UNUSED_PAD src0_sel:WORD_1 src1_sel:DWORD
	v_fma_f16 v14, v19, v30, -v14
	v_mul_f16_sdwa v19, v21, v33 dst_sel:DWORD dst_unused:UNUSED_PAD src0_sel:WORD_1 src1_sel:DWORD
	v_lshrrev_b32_e32 v29, 16, v12
	v_lshrrev_b32_e32 v35, 16, v15
	v_fma_f16 v19, v21, v11, v19
	v_mul_f16_sdwa v11, v21, v11 dst_sel:DWORD dst_unused:UNUSED_PAD src0_sel:WORD_1 src1_sel:DWORD
	v_mul_f16_sdwa v16, v18, v29 dst_sel:DWORD dst_unused:UNUSED_PAD src0_sel:WORD_1 src1_sel:DWORD
	v_fma_f16 v11, v21, v33, -v11
	v_mul_f16_sdwa v21, v23, v35 dst_sel:DWORD dst_unused:UNUSED_PAD src0_sel:WORD_1 src1_sel:DWORD
	v_lshrrev_b32_e32 v32, 16, v9
	v_fma_f16 v16, v18, v12, v16
	v_mul_f16_sdwa v12, v18, v12 dst_sel:DWORD dst_unused:UNUSED_PAD src0_sel:WORD_1 src1_sel:DWORD
	v_fma_f16 v21, v23, v15, v21
	v_mul_f16_sdwa v15, v23, v15 dst_sel:DWORD dst_unused:UNUSED_PAD src0_sel:WORD_1 src1_sel:DWORD
	v_fma_f16 v12, v18, v29, -v12
	v_mul_f16_sdwa v18, v20, v32 dst_sel:DWORD dst_unused:UNUSED_PAD src0_sel:WORD_1 src1_sel:DWORD
	v_fma_f16 v15, v23, v35, -v15
	v_add_f16_e32 v23, v8, v16
	v_lshrrev_b32_e32 v34, 16, v13
	v_fma_f16 v18, v20, v9, v18
	v_mul_f16_sdwa v9, v20, v9 dst_sel:DWORD dst_unused:UNUSED_PAD src0_sel:WORD_1 src1_sel:DWORD
	v_fma_f16 v23, v23, -0.5, v0
	v_sub_f16_e32 v28, v5, v14
	v_fma_f16 v9, v20, v32, -v9
	v_mul_f16_sdwa v20, v22, v34 dst_sel:DWORD dst_unused:UNUSED_PAD src0_sel:WORD_1 src1_sel:DWORD
	v_fma_f16 v29, v28, s1, v23
	v_sub_f16_e32 v30, v10, v12
	v_sub_f16_e32 v32, v36, v8
	;; [unrolled: 1-line block ×3, first 2 shown]
	v_fma_f16 v23, v28, s8, v23
	v_fma_f16 v20, v22, v13, v20
	v_mul_f16_sdwa v13, v22, v13 dst_sel:DWORD dst_unused:UNUSED_PAD src0_sel:WORD_1 src1_sel:DWORD
	v_fma_f16 v29, v30, s0, v29
	v_add_f16_e32 v32, v32, v33
	v_fma_f16 v23, v30, s9, v23
	v_fma_f16 v13, v22, v34, -v13
	v_add_f16_e32 v22, v0, v36
	v_fma_f16 v29, v32, s2, v29
	v_fma_f16 v23, v32, s2, v23
	v_add_f16_e32 v32, v36, v17
	v_add_f16_e32 v22, v22, v8
	v_fma_f16 v0, v32, -0.5, v0
	v_add_f16_e32 v22, v22, v16
	v_fma_f16 v32, v30, s8, v0
	v_sub_f16_e32 v33, v8, v36
	v_sub_f16_e32 v34, v16, v17
	v_fma_f16 v0, v30, s1, v0
	v_add_f16_e32 v30, v10, v12
	v_add_f16_e32 v22, v22, v17
	v_fma_f16 v32, v28, s0, v32
	v_add_f16_e32 v33, v33, v34
	v_fma_f16 v0, v28, s9, v0
	v_fma_f16 v30, v30, -0.5, v3
	v_sub_f16_e32 v17, v36, v17
	v_fma_f16 v32, v33, s2, v32
	v_fma_f16 v0, v33, s2, v0
	;; [unrolled: 1-line block ×3, first 2 shown]
	v_sub_f16_e32 v8, v8, v16
	v_fma_f16 v16, v8, s9, v33
	v_sub_f16_e32 v33, v5, v10
	v_sub_f16_e32 v34, v14, v12
	v_fma_f16 v30, v17, s1, v30
	v_add_f16_e32 v33, v33, v34
	v_fma_f16 v30, v8, s0, v30
	v_fma_f16 v16, v33, s2, v16
	;; [unrolled: 1-line block ×3, first 2 shown]
	v_add_f16_e32 v33, v5, v14
	v_add_f16_e32 v28, v3, v5
	v_fma_f16 v3, v33, -0.5, v3
	v_add_f16_e32 v28, v28, v10
	v_fma_f16 v33, v8, s1, v3
	v_sub_f16_e32 v5, v10, v5
	v_sub_f16_e32 v10, v12, v14
	v_fma_f16 v3, v8, s8, v3
	v_add_f16_e32 v8, v19, v20
	v_add_f16_e32 v28, v28, v12
	v_fma_f16 v33, v17, s9, v33
	v_add_f16_e32 v5, v5, v10
	v_fma_f16 v8, v8, -0.5, v1
	v_sub_f16_e32 v12, v9, v15
	v_add_f16_e32 v28, v28, v14
	v_fma_f16 v10, v5, s2, v33
	v_fma_f16 v3, v17, s0, v3
	;; [unrolled: 1-line block ×3, first 2 shown]
	v_sub_f16_e32 v17, v11, v13
	v_sub_f16_e32 v33, v18, v19
	;; [unrolled: 1-line block ×3, first 2 shown]
	v_fma_f16 v8, v12, s8, v8
	v_fma_f16 v14, v17, s0, v14
	v_add_f16_e32 v33, v33, v34
	v_fma_f16 v8, v17, s9, v8
	v_fma_f16 v14, v33, s2, v14
	;; [unrolled: 1-line block ×3, first 2 shown]
	v_add_f16_e32 v33, v18, v21
	v_lshrrev_b32_e32 v31, 16, v1
	v_fma_f16 v3, v5, s2, v3
	v_add_f16_e32 v5, v1, v18
	v_fma_f16 v1, v33, -0.5, v1
	v_add_f16_e32 v5, v5, v19
	v_fma_f16 v33, v17, s8, v1
	v_fma_f16 v1, v17, s1, v1
	v_add_f16_e32 v17, v11, v13
	v_add_f16_e32 v5, v5, v20
	v_sub_f16_e32 v34, v19, v18
	v_sub_f16_e32 v35, v20, v21
	v_fma_f16 v17, v17, -0.5, v31
	v_sub_f16_e32 v18, v18, v21
	v_add_f16_e32 v5, v5, v21
	v_fma_f16 v33, v12, s0, v33
	v_add_f16_e32 v34, v34, v35
	v_fma_f16 v1, v12, s9, v1
	v_fma_f16 v21, v18, s8, v17
	v_sub_f16_e32 v19, v19, v20
	v_fma_f16 v33, v34, s2, v33
	v_fma_f16 v1, v34, s2, v1
	;; [unrolled: 1-line block ×3, first 2 shown]
	v_sub_f16_e32 v21, v9, v11
	v_sub_f16_e32 v34, v15, v13
	v_fma_f16 v17, v18, s1, v17
	v_add_f16_e32 v21, v21, v34
	v_fma_f16 v17, v19, s0, v17
	v_add_f16_e32 v12, v31, v9
	v_fma_f16 v20, v21, s2, v20
	v_fma_f16 v17, v21, s2, v17
	v_add_f16_e32 v21, v9, v15
	v_add_f16_e32 v12, v12, v11
	v_fma_f16 v21, v21, -0.5, v31
	v_add_f16_e32 v12, v12, v13
	v_fma_f16 v31, v19, s1, v21
	v_sub_f16_e32 v9, v11, v9
	v_sub_f16_e32 v11, v13, v15
	v_fma_f16 v13, v19, s8, v21
	v_pack_b32_f16 v0, v0, v3
	v_add_f16_e32 v12, v12, v15
	v_fma_f16 v31, v18, s9, v31
	v_add_f16_e32 v9, v9, v11
	v_fma_f16 v13, v18, s0, v13
	ds_write_b32 v49, v0 offset:2640
	v_pack_b32_f16 v0, v23, v30
	v_fma_f16 v11, v9, s2, v31
	v_fma_f16 v9, v9, s2, v13
	v_pack_b32_f16 v13, v22, v28
	v_pack_b32_f16 v15, v29, v16
	;; [unrolled: 1-line block ×3, first 2 shown]
	ds_write_b32 v49, v0 offset:3520
	v_pack_b32_f16 v0, v5, v12
	ds_write_b32 v49, v15 offset:880
	ds_write_b32 v49, v10 offset:1760
	ds_write2_b32 v49, v13, v0 offset1:110
	v_pack_b32_f16 v0, v14, v20
	ds_write_b32 v49, v0 offset:1320
	v_pack_b32_f16 v0, v33, v11
	ds_write_b32 v49, v0 offset:2200
	;; [unrolled: 2-line block ×4, first 2 shown]
	s_waitcnt lgkmcnt(0)
	s_barrier
	ds_read2_b32 v[8:9], v49 offset1:110
	v_mad_u64_u32 v[10:11], s[0:1], s6, v26, 0
	v_mov_b32_e32 v0, v11
	v_mov_b32_e32 v3, s3
	s_waitcnt lgkmcnt(0)
	v_lshrrev_b32_e32 v12, 16, v8
	v_mul_f16_sdwa v1, v48, v12 dst_sel:DWORD dst_unused:UNUSED_PAD src0_sel:WORD_1 src1_sel:DWORD
	v_fma_f16 v1, v48, v8, v1
	v_cvt_f32_f16_e32 v5, v1
	v_mad_u64_u32 v[0:1], s[0:1], s7, v26, v[0:1]
	s_mov_b32 s2, 0xdca01dca
	v_mov_b32_e32 v11, v0
	v_cvt_f64_f32_e32 v[0:1], v5
	s_mov_b32 s3, 0x3f4dca01
	v_mul_f64 v[0:1], v[0:1], s[2:3]
	s_movk_i32 s6, 0x1ff
	v_and_or_b32 v0, v1, s6, v0
	v_cmp_ne_u32_e32 vcc, 0, v0
	v_lshrrev_b32_e32 v5, 8, v1
	s_movk_i32 s7, 0xffe
	v_cndmask_b32_e64 v0, 0, 1, vcc
	v_bfe_u32 v13, v1, 20, 11
	v_and_or_b32 v0, v5, s7, v0
	v_sub_u32_e32 v14, 0x3f1, v13
	v_or_b32_e32 v5, 0x1000, v0
	v_med3_i32 v14, v14, 0, 13
	v_lshrrev_b32_e32 v15, v14, v5
	v_lshlrev_b32_e32 v14, v14, v15
	v_cmp_ne_u32_e32 vcc, v14, v5
	v_add_u32_e32 v13, 0xfffffc10, v13
	v_lshl_or_b32 v14, v13, 12, v0
	v_cndmask_b32_e64 v5, 0, 1, vcc
	v_or_b32_e32 v5, v15, v5
	v_cmp_gt_i32_e32 vcc, 1, v13
	v_mul_f16_sdwa v8, v48, v8 dst_sel:DWORD dst_unused:UNUSED_PAD src0_sel:WORD_1 src1_sel:DWORD
	v_fma_f16 v8, v48, v12, -v8
	v_cndmask_b32_e32 v5, v14, v5, vcc
	v_and_b32_e32 v14, 7, v5
	v_cmp_lt_i32_e32 vcc, 5, v14
	v_cmp_eq_u32_e64 s[0:1], 3, v14
	v_lshrrev_b32_e32 v5, 2, v5
	s_or_b64 vcc, s[0:1], vcc
	v_addc_co_u32_e32 v14, vcc, 0, v5, vcc
	v_mov_b32_e32 v5, 0x7c00
	v_cmp_gt_i32_e32 vcc, 31, v13
	v_cvt_f32_f16_e32 v8, v8
	s_movk_i32 s8, 0x40f
	v_cndmask_b32_e32 v14, v5, v14, vcc
	v_cmp_ne_u32_e32 vcc, 0, v0
	s_mov_b32 s9, 0x8000
	v_and_b32_sdwa v17, v1, s9 dst_sel:DWORD dst_unused:UNUSED_PAD src0_sel:WORD_1 src1_sel:DWORD
	v_cndmask_b32_e64 v0, 0, 1, vcc
	v_lshl_or_b32 v0, v0, 9, v5
	v_cmp_eq_u32_e32 vcc, s8, v13
	s_mov_b32 s10, 0xffff
	v_lshl_add_u64 v[2:3], v[10:11], 2, v[2:3]
	v_cndmask_b32_e32 v16, v14, v0, vcc
	v_cvt_f64_f32_e32 v[0:1], v8
	v_mul_f64 v[0:1], v[0:1], s[2:3]
	v_and_or_b32 v0, v1, s6, v0
	v_cmp_ne_u32_e32 vcc, 0, v0
	v_lshrrev_b32_e32 v8, 8, v1
	v_bfe_u32 v12, v1, 20, 11
	v_cndmask_b32_e64 v0, 0, 1, vcc
	v_and_or_b32 v0, v8, s7, v0
	v_sub_u32_e32 v13, 0x3f1, v12
	v_or_b32_e32 v8, 0x1000, v0
	v_med3_i32 v13, v13, 0, 13
	v_lshrrev_b32_e32 v14, v13, v8
	v_lshlrev_b32_e32 v13, v13, v14
	v_cmp_ne_u32_e32 vcc, v13, v8
	v_add_u32_e32 v12, 0xfffffc10, v12
	v_lshl_or_b32 v13, v12, 12, v0
	v_cndmask_b32_e64 v8, 0, 1, vcc
	v_or_b32_e32 v8, v14, v8
	v_cmp_gt_i32_e32 vcc, 1, v12
	v_lshrrev_b32_e32 v1, 16, v1
	s_mul_i32 s11, s5, 0x898
	v_cndmask_b32_e32 v8, v13, v8, vcc
	v_and_b32_e32 v13, 7, v8
	v_cmp_lt_i32_e32 vcc, 5, v13
	v_cmp_eq_u32_e64 s[0:1], 3, v13
	v_lshrrev_b32_e32 v8, 2, v8
	s_or_b64 vcc, s[0:1], vcc
	v_addc_co_u32_e32 v8, vcc, 0, v8, vcc
	v_cmp_gt_i32_e32 vcc, 31, v12
	s_nop 1
	v_cndmask_b32_e32 v8, v5, v8, vcc
	v_cmp_ne_u32_e32 vcc, 0, v0
	s_nop 1
	v_cndmask_b32_e64 v0, 0, 1, vcc
	v_lshl_or_b32 v0, v0, 9, v5
	v_cmp_eq_u32_e32 vcc, s8, v12
	v_mad_u64_u32 v[12:13], s[0:1], s4, v24, 0
	s_nop 0
	v_cndmask_b32_e32 v0, v8, v0, vcc
	v_and_or_b32 v8, v1, s9, v0
	v_mov_b32_e32 v0, v13
	v_mad_u64_u32 v[14:15], s[0:1], s5, v24, v[0:1]
	ds_read2_b32 v[0:1], v25 offset0:56 offset1:166
	v_mov_b32_e32 v13, v14
	v_bitop3_b32 v14, v17, s10, v16 bitop3:0xc8
	v_lshl_or_b32 v8, v8, 16, v14
	v_lshl_add_u64 v[2:3], v[12:13], 2, v[2:3]
	s_waitcnt lgkmcnt(0)
	v_lshrrev_b32_e32 v14, 16, v1
	v_mul_f16_sdwa v15, v47, v14 dst_sel:DWORD dst_unused:UNUSED_PAD src0_sel:WORD_1 src1_sel:DWORD
	v_fma_f16 v15, v47, v1, v15
	v_cvt_f32_f16_e32 v15, v15
	global_store_dword v[2:3], v8, off
	v_mul_f16_sdwa v1, v47, v1 dst_sel:DWORD dst_unused:UNUSED_PAD src0_sel:WORD_1 src1_sel:DWORD
	v_fma_f16 v1, v47, v14, -v1
	v_cvt_f64_f32_e32 v[10:11], v15
	v_mul_f64 v[10:11], v[10:11], s[2:3]
	v_and_or_b32 v8, v11, s6, v10
	v_cmp_ne_u32_e32 vcc, 0, v8
	v_lshrrev_b32_e32 v10, 8, v11
	v_bfe_u32 v12, v11, 20, 11
	v_cndmask_b32_e64 v8, 0, 1, vcc
	v_and_or_b32 v8, v10, s7, v8
	v_sub_u32_e32 v13, 0x3f1, v12
	v_or_b32_e32 v10, 0x1000, v8
	v_med3_i32 v13, v13, 0, 13
	v_lshrrev_b32_e32 v15, v13, v10
	v_lshlrev_b32_e32 v13, v13, v15
	v_cmp_ne_u32_e32 vcc, v13, v10
	v_add_u32_e32 v12, 0xfffffc10, v12
	v_lshl_or_b32 v13, v12, 12, v8
	v_cndmask_b32_e64 v10, 0, 1, vcc
	v_or_b32_e32 v10, v15, v10
	v_cmp_gt_i32_e32 vcc, 1, v12
	v_cvt_f32_f16_e32 v1, v1
	s_nop 0
	v_cndmask_b32_e32 v10, v13, v10, vcc
	v_and_b32_e32 v13, 7, v10
	v_cmp_lt_i32_e32 vcc, 5, v13
	v_cmp_eq_u32_e64 s[0:1], 3, v13
	v_lshrrev_b32_e32 v10, 2, v10
	s_or_b64 vcc, s[0:1], vcc
	v_addc_co_u32_e32 v10, vcc, 0, v10, vcc
	v_cmp_gt_i32_e32 vcc, 31, v12
	s_nop 1
	v_cndmask_b32_e32 v10, v5, v10, vcc
	v_cmp_ne_u32_e32 vcc, 0, v8
	s_nop 1
	v_cndmask_b32_e64 v8, 0, 1, vcc
	v_lshl_or_b32 v8, v8, 9, v5
	v_cmp_eq_u32_e32 vcc, s8, v12
	v_and_b32_sdwa v12, v11, s9 dst_sel:DWORD dst_unused:UNUSED_PAD src0_sel:WORD_1 src1_sel:DWORD
	s_nop 0
	v_cndmask_b32_e32 v8, v10, v8, vcc
	v_cvt_f64_f32_e32 v[10:11], v1
	v_mul_f64 v[10:11], v[10:11], s[2:3]
	v_and_or_b32 v1, v11, s6, v10
	v_cmp_ne_u32_e32 vcc, 0, v1
	v_lshrrev_b32_e32 v10, 8, v11
	v_bfe_u32 v13, v11, 20, 11
	v_cndmask_b32_e64 v1, 0, 1, vcc
	v_and_or_b32 v1, v10, s7, v1
	v_sub_u32_e32 v14, 0x3f1, v13
	v_or_b32_e32 v10, 0x1000, v1
	v_med3_i32 v14, v14, 0, 13
	v_lshrrev_b32_e32 v15, v14, v10
	v_lshlrev_b32_e32 v14, v14, v15
	v_cmp_ne_u32_e32 vcc, v14, v10
	v_add_u32_e32 v13, 0xfffffc10, v13
	v_lshl_or_b32 v14, v13, 12, v1
	v_cndmask_b32_e64 v10, 0, 1, vcc
	v_or_b32_e32 v10, v15, v10
	v_cmp_gt_i32_e32 vcc, 1, v13
	v_bitop3_b32 v8, v12, s10, v8 bitop3:0xc8
	v_lshrrev_b32_e32 v12, 16, v9
	v_cndmask_b32_e32 v10, v14, v10, vcc
	v_and_b32_e32 v14, 7, v10
	v_cmp_lt_i32_e32 vcc, 5, v14
	v_cmp_eq_u32_e64 s[0:1], 3, v14
	v_lshrrev_b32_e32 v10, 2, v10
	s_or_b64 vcc, s[0:1], vcc
	v_addc_co_u32_e32 v10, vcc, 0, v10, vcc
	v_cmp_gt_i32_e32 vcc, 31, v13
	s_nop 1
	v_cndmask_b32_e32 v10, v5, v10, vcc
	v_cmp_ne_u32_e32 vcc, 0, v1
	s_nop 1
	v_cndmask_b32_e64 v1, 0, 1, vcc
	v_lshl_or_b32 v1, v1, 9, v5
	v_cmp_eq_u32_e32 vcc, s8, v13
	s_nop 1
	v_cndmask_b32_e32 v1, v10, v1, vcc
	v_lshrrev_b32_e32 v10, 16, v11
	v_and_or_b32 v1, v10, s9, v1
	v_lshl_or_b32 v8, v1, 16, v8
	v_mov_b32_e32 v1, 0x898
	v_mad_u64_u32 v[10:11], s[0:1], s4, v1, v[2:3]
	v_mul_f16_sdwa v2, v46, v12 dst_sel:DWORD dst_unused:UNUSED_PAD src0_sel:WORD_1 src1_sel:DWORD
	v_fma_f16 v2, v46, v9, v2
	v_cvt_f32_f16_e32 v2, v2
	v_add_u32_e32 v11, s11, v11
	global_store_dword v[10:11], v8, off
	v_mul_f16_sdwa v9, v46, v9 dst_sel:DWORD dst_unused:UNUSED_PAD src0_sel:WORD_1 src1_sel:DWORD
	v_cvt_f64_f32_e32 v[2:3], v2
	v_mul_f64 v[2:3], v[2:3], s[2:3]
	v_and_or_b32 v2, v3, s6, v2
	v_cmp_ne_u32_e32 vcc, 0, v2
	v_lshrrev_b32_e32 v8, 8, v3
	v_bfe_u32 v13, v3, 20, 11
	v_cndmask_b32_e64 v2, 0, 1, vcc
	v_and_or_b32 v2, v8, s7, v2
	v_sub_u32_e32 v14, 0x3f1, v13
	v_or_b32_e32 v8, 0x1000, v2
	v_med3_i32 v14, v14, 0, 13
	v_lshrrev_b32_e32 v15, v14, v8
	v_lshlrev_b32_e32 v14, v14, v15
	v_cmp_ne_u32_e32 vcc, v14, v8
	v_add_u32_e32 v13, 0xfffffc10, v13
	v_lshl_or_b32 v14, v13, 12, v2
	v_cndmask_b32_e64 v8, 0, 1, vcc
	v_or_b32_e32 v8, v15, v8
	v_cmp_gt_i32_e32 vcc, 1, v13
	v_fma_f16 v9, v46, v12, -v9
	v_cvt_f32_f16_e32 v9, v9
	v_cndmask_b32_e32 v8, v14, v8, vcc
	v_and_b32_e32 v14, 7, v8
	v_cmp_lt_i32_e32 vcc, 5, v14
	v_cmp_eq_u32_e64 s[0:1], 3, v14
	v_lshrrev_b32_e32 v8, 2, v8
	s_or_b64 vcc, s[0:1], vcc
	v_addc_co_u32_e32 v8, vcc, 0, v8, vcc
	v_cmp_gt_i32_e32 vcc, 31, v13
	v_and_b32_sdwa v12, v3, s9 dst_sel:DWORD dst_unused:UNUSED_PAD src0_sel:WORD_1 src1_sel:DWORD
	s_nop 0
	v_cndmask_b32_e32 v8, v5, v8, vcc
	v_cmp_ne_u32_e32 vcc, 0, v2
	s_nop 1
	v_cndmask_b32_e64 v2, 0, 1, vcc
	v_lshl_or_b32 v2, v2, 9, v5
	v_cmp_eq_u32_e32 vcc, s8, v13
	s_nop 1
	v_cndmask_b32_e32 v8, v8, v2, vcc
	v_cvt_f64_f32_e32 v[2:3], v9
	v_mul_f64 v[2:3], v[2:3], s[2:3]
	v_and_or_b32 v2, v3, s6, v2
	v_cmp_ne_u32_e32 vcc, 0, v2
	v_lshrrev_b32_e32 v9, 8, v3
	v_bfe_u32 v13, v3, 20, 11
	v_cndmask_b32_e64 v2, 0, 1, vcc
	v_and_or_b32 v2, v9, s7, v2
	v_sub_u32_e32 v14, 0x3f1, v13
	v_or_b32_e32 v9, 0x1000, v2
	v_med3_i32 v14, v14, 0, 13
	v_lshrrev_b32_e32 v15, v14, v9
	v_lshlrev_b32_e32 v14, v14, v15
	v_cmp_ne_u32_e32 vcc, v14, v9
	v_add_u32_e32 v13, 0xfffffc10, v13
	v_lshl_or_b32 v14, v13, 12, v2
	v_cndmask_b32_e64 v9, 0, 1, vcc
	v_or_b32_e32 v9, v15, v9
	v_cmp_gt_i32_e32 vcc, 1, v13
	v_lshrrev_b32_e32 v3, 16, v3
	s_nop 0
	v_cndmask_b32_e32 v9, v14, v9, vcc
	v_and_b32_e32 v14, 7, v9
	v_cmp_lt_i32_e32 vcc, 5, v14
	v_cmp_eq_u32_e64 s[0:1], 3, v14
	v_lshrrev_b32_e32 v9, 2, v9
	s_or_b64 vcc, s[0:1], vcc
	v_addc_co_u32_e32 v9, vcc, 0, v9, vcc
	v_cmp_gt_i32_e32 vcc, 31, v13
	s_nop 1
	v_cndmask_b32_e32 v9, v5, v9, vcc
	v_cmp_ne_u32_e32 vcc, 0, v2
	s_nop 1
	v_cndmask_b32_e64 v2, 0, 1, vcc
	v_lshl_or_b32 v2, v2, 9, v5
	v_cmp_eq_u32_e32 vcc, s8, v13
	s_nop 1
	v_cndmask_b32_e32 v2, v9, v2, vcc
	v_and_or_b32 v2, v3, s9, v2
	v_bitop3_b32 v3, v12, s10, v8 bitop3:0xc8
	ds_read2_b32 v[8:9], v7 offset0:20 offset1:130
	v_lshl_or_b32 v3, v2, 16, v3
	v_mov_b32_e32 v2, 0xfffff920
	v_mad_u64_u32 v[10:11], s[0:1], s4, v2, v[10:11]
	s_waitcnt lgkmcnt(0)
	v_lshrrev_b32_e32 v7, 16, v8
	v_mul_f16_sdwa v12, v45, v7 dst_sel:DWORD dst_unused:UNUSED_PAD src0_sel:WORD_1 src1_sel:DWORD
	v_fma_f16 v12, v45, v8, v12
	v_cvt_f32_f16_e32 v12, v12
	s_mul_i32 s0, s5, 0xfffff920
	s_sub_i32 s5, s0, s4
	v_add_u32_e32 v11, s5, v11
	v_cvt_f64_f32_e32 v[12:13], v12
	v_mul_f64 v[12:13], v[12:13], s[2:3]
	global_store_dword v[10:11], v3, off
	v_and_or_b32 v3, v13, s6, v12
	v_cmp_ne_u32_e32 vcc, 0, v3
	v_lshrrev_b32_e32 v12, 8, v13
	v_bfe_u32 v14, v13, 20, 11
	v_cndmask_b32_e64 v3, 0, 1, vcc
	v_and_or_b32 v3, v12, s7, v3
	v_sub_u32_e32 v15, 0x3f1, v14
	v_or_b32_e32 v12, 0x1000, v3
	v_med3_i32 v15, v15, 0, 13
	v_lshrrev_b32_e32 v16, v15, v12
	v_lshlrev_b32_e32 v15, v15, v16
	v_cmp_ne_u32_e32 vcc, v15, v12
	v_add_u32_e32 v14, 0xfffffc10, v14
	v_lshl_or_b32 v15, v14, 12, v3
	v_cndmask_b32_e64 v12, 0, 1, vcc
	v_or_b32_e32 v12, v16, v12
	v_cmp_gt_i32_e32 vcc, 1, v14
	v_mul_f16_sdwa v8, v45, v8 dst_sel:DWORD dst_unused:UNUSED_PAD src0_sel:WORD_1 src1_sel:DWORD
	v_fma_f16 v7, v45, v7, -v8
	v_cndmask_b32_e32 v12, v15, v12, vcc
	v_and_b32_e32 v15, 7, v12
	v_cmp_lt_i32_e32 vcc, 5, v15
	v_cmp_eq_u32_e64 s[0:1], 3, v15
	v_lshrrev_b32_e32 v12, 2, v12
	s_or_b64 vcc, s[0:1], vcc
	v_addc_co_u32_e32 v12, vcc, 0, v12, vcc
	v_cmp_gt_i32_e32 vcc, 31, v14
	v_cvt_f32_f16_e32 v7, v7
	v_and_b32_sdwa v8, v13, s9 dst_sel:DWORD dst_unused:UNUSED_PAD src0_sel:WORD_1 src1_sel:DWORD
	v_cndmask_b32_e32 v12, v5, v12, vcc
	v_cmp_ne_u32_e32 vcc, 0, v3
	s_nop 1
	v_cndmask_b32_e64 v3, 0, 1, vcc
	v_lshl_or_b32 v3, v3, 9, v5
	v_cmp_eq_u32_e32 vcc, s8, v14
	s_nop 1
	v_cndmask_b32_e32 v3, v12, v3, vcc
	v_cvt_f64_f32_e32 v[12:13], v7
	v_mul_f64 v[12:13], v[12:13], s[2:3]
	v_and_or_b32 v7, v13, s6, v12
	v_cmp_ne_u32_e32 vcc, 0, v7
	v_lshrrev_b32_e32 v12, 8, v13
	v_bfe_u32 v14, v13, 20, 11
	v_cndmask_b32_e64 v7, 0, 1, vcc
	v_and_or_b32 v7, v12, s7, v7
	v_sub_u32_e32 v15, 0x3f1, v14
	v_or_b32_e32 v12, 0x1000, v7
	v_med3_i32 v15, v15, 0, 13
	v_lshrrev_b32_e32 v16, v15, v12
	v_lshlrev_b32_e32 v15, v15, v16
	v_cmp_ne_u32_e32 vcc, v15, v12
	v_add_u32_e32 v14, 0xfffffc10, v14
	v_lshl_or_b32 v15, v14, 12, v7
	v_cndmask_b32_e64 v12, 0, 1, vcc
	v_or_b32_e32 v12, v16, v12
	v_cmp_gt_i32_e32 vcc, 1, v14
	v_lshrrev_b32_e32 v13, 16, v13
	v_bitop3_b32 v3, v8, s10, v3 bitop3:0xc8
	v_cndmask_b32_e32 v12, v15, v12, vcc
	v_and_b32_e32 v15, 7, v12
	v_cmp_lt_i32_e32 vcc, 5, v15
	v_cmp_eq_u32_e64 s[0:1], 3, v15
	v_lshrrev_b32_e32 v12, 2, v12
	s_or_b64 vcc, s[0:1], vcc
	v_addc_co_u32_e32 v12, vcc, 0, v12, vcc
	v_cmp_gt_i32_e32 vcc, 31, v14
	v_mad_u64_u32 v[10:11], s[0:1], s4, v1, v[10:11]
	s_nop 0
	v_cndmask_b32_e32 v12, v5, v12, vcc
	v_cmp_ne_u32_e32 vcc, 0, v7
	v_add_u32_e32 v11, s11, v11
	s_nop 0
	v_cndmask_b32_e64 v7, 0, 1, vcc
	v_lshl_or_b32 v7, v7, 9, v5
	v_cmp_eq_u32_e32 vcc, s8, v14
	s_nop 1
	v_cndmask_b32_e32 v12, v12, v7, vcc
	ds_read2_b32 v[6:7], v6 offset0:92 offset1:202
	v_and_or_b32 v12, v13, s9, v12
	v_lshl_or_b32 v3, v12, 16, v3
	global_store_dword v[10:11], v3, off
	s_waitcnt lgkmcnt(0)
	v_lshrrev_b32_e32 v8, 16, v6
	v_mul_f16_sdwa v12, v44, v8 dst_sel:DWORD dst_unused:UNUSED_PAD src0_sel:WORD_1 src1_sel:DWORD
	v_fma_f16 v12, v44, v6, v12
	v_cvt_f32_f16_e32 v12, v12
	v_mul_f16_sdwa v6, v44, v6 dst_sel:DWORD dst_unused:UNUSED_PAD src0_sel:WORD_1 src1_sel:DWORD
	v_fma_f16 v6, v44, v8, -v6
	v_cvt_f32_f16_e32 v6, v6
	v_cvt_f64_f32_e32 v[12:13], v12
	v_mul_f64 v[12:13], v[12:13], s[2:3]
	v_and_or_b32 v3, v13, s6, v12
	v_cmp_ne_u32_e32 vcc, 0, v3
	v_lshrrev_b32_e32 v12, 8, v13
	v_bfe_u32 v14, v13, 20, 11
	v_cndmask_b32_e64 v3, 0, 1, vcc
	v_and_or_b32 v3, v12, s7, v3
	v_sub_u32_e32 v15, 0x3f1, v14
	v_or_b32_e32 v12, 0x1000, v3
	v_med3_i32 v15, v15, 0, 13
	v_lshrrev_b32_e32 v16, v15, v12
	v_lshlrev_b32_e32 v15, v15, v16
	v_cmp_ne_u32_e32 vcc, v15, v12
	v_add_u32_e32 v14, 0xfffffc10, v14
	v_lshl_or_b32 v15, v14, 12, v3
	v_cndmask_b32_e64 v12, 0, 1, vcc
	v_or_b32_e32 v12, v16, v12
	v_cmp_gt_i32_e32 vcc, 1, v14
	v_and_b32_sdwa v8, v13, s9 dst_sel:DWORD dst_unused:UNUSED_PAD src0_sel:WORD_1 src1_sel:DWORD
	s_nop 0
	v_cndmask_b32_e32 v12, v15, v12, vcc
	v_and_b32_e32 v15, 7, v12
	v_cmp_lt_i32_e32 vcc, 5, v15
	v_cmp_eq_u32_e64 s[0:1], 3, v15
	v_lshrrev_b32_e32 v12, 2, v12
	s_or_b64 vcc, s[0:1], vcc
	v_addc_co_u32_e32 v12, vcc, 0, v12, vcc
	v_cmp_gt_i32_e32 vcc, 31, v14
	s_nop 1
	v_cndmask_b32_e32 v12, v5, v12, vcc
	v_cmp_ne_u32_e32 vcc, 0, v3
	s_nop 1
	v_cndmask_b32_e64 v3, 0, 1, vcc
	v_lshl_or_b32 v3, v3, 9, v5
	v_cmp_eq_u32_e32 vcc, s8, v14
	s_nop 1
	v_cndmask_b32_e32 v3, v12, v3, vcc
	v_cvt_f64_f32_e32 v[12:13], v6
	v_mul_f64 v[12:13], v[12:13], s[2:3]
	v_and_or_b32 v6, v13, s6, v12
	v_cmp_ne_u32_e32 vcc, 0, v6
	v_lshrrev_b32_e32 v12, 8, v13
	v_bfe_u32 v14, v13, 20, 11
	v_cndmask_b32_e64 v6, 0, 1, vcc
	v_and_or_b32 v6, v12, s7, v6
	v_sub_u32_e32 v15, 0x3f1, v14
	v_or_b32_e32 v12, 0x1000, v6
	v_med3_i32 v15, v15, 0, 13
	v_lshrrev_b32_e32 v16, v15, v12
	v_lshlrev_b32_e32 v15, v15, v16
	v_cmp_ne_u32_e32 vcc, v15, v12
	v_add_u32_e32 v14, 0xfffffc10, v14
	v_lshl_or_b32 v15, v14, 12, v6
	v_cndmask_b32_e64 v12, 0, 1, vcc
	v_or_b32_e32 v12, v16, v12
	v_cmp_gt_i32_e32 vcc, 1, v14
	v_bitop3_b32 v3, v8, s10, v3 bitop3:0xc8
	s_nop 0
	v_cndmask_b32_e32 v12, v15, v12, vcc
	v_and_b32_e32 v15, 7, v12
	v_cmp_lt_i32_e32 vcc, 5, v15
	v_cmp_eq_u32_e64 s[0:1], 3, v15
	v_lshrrev_b32_e32 v12, 2, v12
	s_or_b64 vcc, s[0:1], vcc
	v_addc_co_u32_e32 v12, vcc, 0, v12, vcc
	v_cmp_gt_i32_e32 vcc, 31, v14
	v_mad_u64_u32 v[10:11], s[0:1], s4, v2, v[10:11]
	s_nop 0
	v_cndmask_b32_e32 v12, v5, v12, vcc
	v_cmp_ne_u32_e32 vcc, 0, v6
	v_add_u32_e32 v11, s5, v11
	s_nop 0
	v_cndmask_b32_e64 v6, 0, 1, vcc
	v_lshl_or_b32 v6, v6, 9, v5
	v_cmp_eq_u32_e32 vcc, s8, v14
	s_nop 1
	v_cndmask_b32_e32 v6, v12, v6, vcc
	v_lshrrev_b32_e32 v12, 16, v13
	v_and_or_b32 v6, v12, s9, v6
	v_lshl_or_b32 v3, v6, 16, v3
	v_lshrrev_b32_e32 v6, 16, v9
	v_mul_f16_sdwa v8, v43, v6 dst_sel:DWORD dst_unused:UNUSED_PAD src0_sel:WORD_1 src1_sel:DWORD
	v_fma_f16 v8, v43, v9, v8
	v_cvt_f32_f16_e32 v8, v8
	global_store_dword v[10:11], v3, off
	v_mul_f16_sdwa v9, v43, v9 dst_sel:DWORD dst_unused:UNUSED_PAD src0_sel:WORD_1 src1_sel:DWORD
	v_fma_f16 v6, v43, v6, -v9
	v_cvt_f64_f32_e32 v[12:13], v8
	v_mul_f64 v[12:13], v[12:13], s[2:3]
	v_and_or_b32 v3, v13, s6, v12
	v_cmp_ne_u32_e32 vcc, 0, v3
	v_lshrrev_b32_e32 v8, 8, v13
	v_bfe_u32 v12, v13, 20, 11
	v_cndmask_b32_e64 v3, 0, 1, vcc
	v_and_or_b32 v3, v8, s7, v3
	v_sub_u32_e32 v14, 0x3f1, v12
	v_or_b32_e32 v8, 0x1000, v3
	v_med3_i32 v14, v14, 0, 13
	v_lshrrev_b32_e32 v15, v14, v8
	v_lshlrev_b32_e32 v14, v14, v15
	v_cmp_ne_u32_e32 vcc, v14, v8
	v_add_u32_e32 v12, 0xfffffc10, v12
	v_lshl_or_b32 v14, v12, 12, v3
	v_cndmask_b32_e64 v8, 0, 1, vcc
	v_or_b32_e32 v8, v15, v8
	v_cmp_gt_i32_e32 vcc, 1, v12
	v_cvt_f32_f16_e32 v6, v6
	s_nop 0
	v_cndmask_b32_e32 v8, v14, v8, vcc
	v_and_b32_e32 v14, 7, v8
	v_cmp_lt_i32_e32 vcc, 5, v14
	v_cmp_eq_u32_e64 s[0:1], 3, v14
	v_lshrrev_b32_e32 v8, 2, v8
	s_or_b64 vcc, s[0:1], vcc
	v_addc_co_u32_e32 v8, vcc, 0, v8, vcc
	v_cmp_gt_i32_e32 vcc, 31, v12
	s_nop 1
	v_cndmask_b32_e32 v8, v5, v8, vcc
	v_cmp_ne_u32_e32 vcc, 0, v3
	s_nop 1
	v_cndmask_b32_e64 v3, 0, 1, vcc
	v_lshl_or_b32 v3, v3, 9, v5
	v_cmp_eq_u32_e32 vcc, s8, v12
	v_and_b32_sdwa v12, v13, s9 dst_sel:DWORD dst_unused:UNUSED_PAD src0_sel:WORD_1 src1_sel:DWORD
	s_nop 0
	v_cndmask_b32_e32 v3, v8, v3, vcc
	v_cvt_f64_f32_e32 v[8:9], v6
	v_mul_f64 v[8:9], v[8:9], s[2:3]
	v_and_or_b32 v6, v9, s6, v8
	v_cmp_ne_u32_e32 vcc, 0, v6
	v_lshrrev_b32_e32 v8, 8, v9
	v_bfe_u32 v13, v9, 20, 11
	v_cndmask_b32_e64 v6, 0, 1, vcc
	v_and_or_b32 v6, v8, s7, v6
	v_sub_u32_e32 v14, 0x3f1, v13
	v_or_b32_e32 v8, 0x1000, v6
	v_med3_i32 v14, v14, 0, 13
	v_lshrrev_b32_e32 v15, v14, v8
	v_lshlrev_b32_e32 v14, v14, v15
	v_cmp_ne_u32_e32 vcc, v14, v8
	v_add_u32_e32 v13, 0xfffffc10, v13
	v_lshl_or_b32 v14, v13, 12, v6
	v_cndmask_b32_e64 v8, 0, 1, vcc
	v_or_b32_e32 v8, v15, v8
	v_cmp_gt_i32_e32 vcc, 1, v13
	v_bitop3_b32 v3, v12, s10, v3 bitop3:0xc8
	s_nop 0
	v_cndmask_b32_e32 v8, v14, v8, vcc
	v_and_b32_e32 v14, 7, v8
	v_cmp_lt_i32_e32 vcc, 5, v14
	v_cmp_eq_u32_e64 s[0:1], 3, v14
	v_lshrrev_b32_e32 v8, 2, v8
	s_or_b64 vcc, s[0:1], vcc
	v_addc_co_u32_e32 v8, vcc, 0, v8, vcc
	v_cmp_gt_i32_e32 vcc, 31, v13
	s_nop 1
	v_cndmask_b32_e32 v8, v5, v8, vcc
	v_cmp_ne_u32_e32 vcc, 0, v6
	s_nop 1
	v_cndmask_b32_e64 v6, 0, 1, vcc
	v_lshl_or_b32 v6, v6, 9, v5
	v_cmp_eq_u32_e32 vcc, s8, v13
	s_nop 1
	v_cndmask_b32_e32 v6, v8, v6, vcc
	v_lshrrev_b32_e32 v8, 16, v9
	v_and_or_b32 v6, v8, s9, v6
	v_lshl_or_b32 v3, v6, 16, v3
	v_lshrrev_b32_e32 v6, 16, v7
	v_mul_f16_sdwa v8, v42, v6 dst_sel:DWORD dst_unused:UNUSED_PAD src0_sel:WORD_1 src1_sel:DWORD
	v_fma_f16 v8, v42, v7, v8
	v_cvt_f32_f16_e32 v12, v8
	v_mad_u64_u32 v[8:9], s[0:1], s4, v1, v[10:11]
	v_add_u32_e32 v9, s11, v9
	v_cvt_f64_f32_e32 v[10:11], v12
	v_mul_f64 v[10:11], v[10:11], s[2:3]
	global_store_dword v[8:9], v3, off
	v_and_or_b32 v3, v11, s6, v10
	v_cmp_ne_u32_e32 vcc, 0, v3
	v_lshrrev_b32_e32 v10, 8, v11
	v_bfe_u32 v12, v11, 20, 11
	v_cndmask_b32_e64 v3, 0, 1, vcc
	v_and_or_b32 v3, v10, s7, v3
	v_sub_u32_e32 v13, 0x3f1, v12
	v_or_b32_e32 v10, 0x1000, v3
	v_med3_i32 v13, v13, 0, 13
	v_lshrrev_b32_e32 v14, v13, v10
	v_lshlrev_b32_e32 v13, v13, v14
	v_cmp_ne_u32_e32 vcc, v13, v10
	v_add_u32_e32 v12, 0xfffffc10, v12
	v_lshl_or_b32 v13, v12, 12, v3
	v_cndmask_b32_e64 v10, 0, 1, vcc
	v_or_b32_e32 v10, v14, v10
	v_cmp_gt_i32_e32 vcc, 1, v12
	v_mul_f16_sdwa v7, v42, v7 dst_sel:DWORD dst_unused:UNUSED_PAD src0_sel:WORD_1 src1_sel:DWORD
	v_fma_f16 v6, v42, v6, -v7
	v_cndmask_b32_e32 v10, v13, v10, vcc
	v_and_b32_e32 v13, 7, v10
	v_cmp_lt_i32_e32 vcc, 5, v13
	v_cmp_eq_u32_e64 s[0:1], 3, v13
	v_cvt_f32_f16_e32 v6, v6
	v_lshrrev_b32_e32 v10, 2, v10
	s_or_b64 vcc, s[0:1], vcc
	v_addc_co_u32_e32 v10, vcc, 0, v10, vcc
	v_cmp_gt_i32_e32 vcc, 31, v12
	v_cvt_f64_f32_e32 v[6:7], v6
	v_mul_f64 v[6:7], v[6:7], s[2:3]
	v_cndmask_b32_e32 v10, v5, v10, vcc
	v_cmp_ne_u32_e32 vcc, 0, v3
	v_and_or_b32 v6, v7, s6, v6
	s_nop 0
	v_cndmask_b32_e64 v3, 0, 1, vcc
	v_lshl_or_b32 v3, v3, 9, v5
	v_cmp_eq_u32_e32 vcc, s8, v12
	v_and_b32_sdwa v12, v11, s9 dst_sel:DWORD dst_unused:UNUSED_PAD src0_sel:WORD_1 src1_sel:DWORD
	v_bfe_u32 v11, v7, 20, 11
	v_cndmask_b32_e32 v3, v10, v3, vcc
	v_cmp_ne_u32_e32 vcc, 0, v6
	v_lshrrev_b32_e32 v10, 8, v7
	v_sub_u32_e32 v13, 0x3f1, v11
	v_cndmask_b32_e64 v6, 0, 1, vcc
	v_and_or_b32 v6, v10, s7, v6
	v_or_b32_e32 v10, 0x1000, v6
	v_med3_i32 v13, v13, 0, 13
	v_lshrrev_b32_e32 v14, v13, v10
	v_lshlrev_b32_e32 v13, v13, v14
	v_cmp_ne_u32_e32 vcc, v13, v10
	v_add_u32_e32 v11, 0xfffffc10, v11
	v_lshl_or_b32 v13, v11, 12, v6
	v_cndmask_b32_e64 v10, 0, 1, vcc
	v_or_b32_e32 v10, v14, v10
	v_cmp_gt_i32_e32 vcc, 1, v11
	v_bitop3_b32 v3, v12, s10, v3 bitop3:0xc8
	s_nop 0
	v_cndmask_b32_e32 v10, v13, v10, vcc
	v_and_b32_e32 v13, 7, v10
	v_cmp_lt_i32_e32 vcc, 5, v13
	v_cmp_eq_u32_e64 s[0:1], 3, v13
	v_lshrrev_b32_e32 v10, 2, v10
	s_or_b64 vcc, s[0:1], vcc
	v_addc_co_u32_e32 v10, vcc, 0, v10, vcc
	v_cmp_gt_i32_e32 vcc, 31, v11
	s_nop 1
	v_cndmask_b32_e32 v10, v5, v10, vcc
	v_cmp_ne_u32_e32 vcc, 0, v6
	s_nop 1
	v_cndmask_b32_e64 v6, 0, 1, vcc
	v_lshl_or_b32 v6, v6, 9, v5
	v_cmp_eq_u32_e32 vcc, s8, v11
	s_nop 1
	v_cndmask_b32_e32 v6, v10, v6, vcc
	ds_read2_b32 v[10:11], v4 offset0:112 offset1:222
	v_lshrrev_b32_e32 v4, 16, v7
	v_and_or_b32 v4, v4, s9, v6
	v_lshl_or_b32 v3, v4, 16, v3
	s_waitcnt lgkmcnt(0)
	v_lshrrev_b32_e32 v4, 16, v10
	v_mul_f16_sdwa v6, v41, v4 dst_sel:DWORD dst_unused:UNUSED_PAD src0_sel:WORD_1 src1_sel:DWORD
	v_fma_f16 v6, v41, v10, v6
	v_cvt_f32_f16_e32 v12, v6
	v_mad_u64_u32 v[6:7], s[0:1], s4, v2, v[8:9]
	v_add_u32_e32 v7, s5, v7
	v_cvt_f64_f32_e32 v[8:9], v12
	v_mul_f64 v[8:9], v[8:9], s[2:3]
	global_store_dword v[6:7], v3, off
	v_and_or_b32 v3, v9, s6, v8
	v_cmp_ne_u32_e32 vcc, 0, v3
	v_lshrrev_b32_e32 v8, 8, v9
	v_bfe_u32 v12, v9, 20, 11
	v_cndmask_b32_e64 v3, 0, 1, vcc
	v_and_or_b32 v3, v8, s7, v3
	v_sub_u32_e32 v13, 0x3f1, v12
	v_or_b32_e32 v8, 0x1000, v3
	v_med3_i32 v13, v13, 0, 13
	v_lshrrev_b32_e32 v14, v13, v8
	v_lshlrev_b32_e32 v13, v13, v14
	v_cmp_ne_u32_e32 vcc, v13, v8
	v_add_u32_e32 v12, 0xfffffc10, v12
	v_lshl_or_b32 v13, v12, 12, v3
	v_cndmask_b32_e64 v8, 0, 1, vcc
	v_or_b32_e32 v8, v14, v8
	v_cmp_gt_i32_e32 vcc, 1, v12
	v_mul_f16_sdwa v10, v41, v10 dst_sel:DWORD dst_unused:UNUSED_PAD src0_sel:WORD_1 src1_sel:DWORD
	v_fma_f16 v4, v41, v4, -v10
	v_cndmask_b32_e32 v8, v13, v8, vcc
	v_and_b32_e32 v13, 7, v8
	v_cmp_lt_i32_e32 vcc, 5, v13
	v_cmp_eq_u32_e64 s[0:1], 3, v13
	v_lshrrev_b32_e32 v8, 2, v8
	s_or_b64 vcc, s[0:1], vcc
	v_addc_co_u32_e32 v8, vcc, 0, v8, vcc
	v_cmp_gt_i32_e32 vcc, 31, v12
	v_cvt_f32_f16_e32 v4, v4
	v_and_b32_sdwa v10, v9, s9 dst_sel:DWORD dst_unused:UNUSED_PAD src0_sel:WORD_1 src1_sel:DWORD
	v_cndmask_b32_e32 v8, v5, v8, vcc
	v_cmp_ne_u32_e32 vcc, 0, v3
	s_nop 1
	v_cndmask_b32_e64 v3, 0, 1, vcc
	v_lshl_or_b32 v3, v3, 9, v5
	v_cmp_eq_u32_e32 vcc, s8, v12
	s_nop 1
	v_cndmask_b32_e32 v3, v8, v3, vcc
	v_cvt_f64_f32_e32 v[8:9], v4
	v_mul_f64 v[8:9], v[8:9], s[2:3]
	v_and_or_b32 v4, v9, s6, v8
	v_cmp_ne_u32_e32 vcc, 0, v4
	v_lshrrev_b32_e32 v8, 8, v9
	v_bfe_u32 v12, v9, 20, 11
	v_cndmask_b32_e64 v4, 0, 1, vcc
	v_and_or_b32 v4, v8, s7, v4
	v_sub_u32_e32 v13, 0x3f1, v12
	v_or_b32_e32 v8, 0x1000, v4
	v_med3_i32 v13, v13, 0, 13
	v_lshrrev_b32_e32 v14, v13, v8
	v_lshlrev_b32_e32 v13, v13, v14
	v_cmp_ne_u32_e32 vcc, v13, v8
	v_add_u32_e32 v12, 0xfffffc10, v12
	v_lshl_or_b32 v13, v12, 12, v4
	v_cndmask_b32_e64 v8, 0, 1, vcc
	v_or_b32_e32 v8, v14, v8
	v_cmp_gt_i32_e32 vcc, 1, v12
	v_bitop3_b32 v3, v10, s10, v3 bitop3:0xc8
	s_nop 0
	v_cndmask_b32_e32 v8, v13, v8, vcc
	v_and_b32_e32 v13, 7, v8
	v_cmp_lt_i32_e32 vcc, 5, v13
	v_cmp_eq_u32_e64 s[0:1], 3, v13
	v_lshrrev_b32_e32 v8, 2, v8
	s_or_b64 vcc, s[0:1], vcc
	v_addc_co_u32_e32 v8, vcc, 0, v8, vcc
	v_cmp_gt_i32_e32 vcc, 31, v12
	v_mad_u64_u32 v[6:7], s[0:1], s4, v1, v[6:7]
	s_nop 0
	v_cndmask_b32_e32 v8, v5, v8, vcc
	v_cmp_ne_u32_e32 vcc, 0, v4
	v_add_u32_e32 v7, s11, v7
	s_nop 0
	v_cndmask_b32_e64 v4, 0, 1, vcc
	v_lshl_or_b32 v4, v4, 9, v5
	v_cmp_eq_u32_e32 vcc, s8, v12
	s_nop 1
	v_cndmask_b32_e32 v4, v8, v4, vcc
	v_lshrrev_b32_e32 v8, 16, v9
	v_and_or_b32 v4, v8, s9, v4
	v_lshl_or_b32 v3, v4, 16, v3
	v_lshrrev_b32_e32 v4, 16, v0
	v_mul_f16_sdwa v8, v40, v4 dst_sel:DWORD dst_unused:UNUSED_PAD src0_sel:WORD_1 src1_sel:DWORD
	v_fma_f16 v8, v40, v0, v8
	v_cvt_f32_f16_e32 v8, v8
	global_store_dword v[6:7], v3, off
	v_mul_f16_sdwa v0, v40, v0 dst_sel:DWORD dst_unused:UNUSED_PAD src0_sel:WORD_1 src1_sel:DWORD
	v_fma_f16 v0, v40, v4, -v0
	v_cvt_f64_f32_e32 v[8:9], v8
	v_mul_f64 v[8:9], v[8:9], s[2:3]
	v_and_or_b32 v3, v9, s6, v8
	v_cmp_ne_u32_e32 vcc, 0, v3
	v_lshrrev_b32_e32 v8, 8, v9
	v_bfe_u32 v10, v9, 20, 11
	v_cndmask_b32_e64 v3, 0, 1, vcc
	v_and_or_b32 v3, v8, s7, v3
	v_sub_u32_e32 v12, 0x3f1, v10
	v_or_b32_e32 v8, 0x1000, v3
	v_med3_i32 v12, v12, 0, 13
	v_lshrrev_b32_e32 v13, v12, v8
	v_lshlrev_b32_e32 v12, v12, v13
	v_cmp_ne_u32_e32 vcc, v12, v8
	v_add_u32_e32 v10, 0xfffffc10, v10
	v_lshl_or_b32 v12, v10, 12, v3
	v_cndmask_b32_e64 v8, 0, 1, vcc
	v_or_b32_e32 v8, v13, v8
	v_cmp_gt_i32_e32 vcc, 1, v10
	v_cvt_f32_f16_e32 v0, v0
	v_and_b32_sdwa v4, v9, s9 dst_sel:DWORD dst_unused:UNUSED_PAD src0_sel:WORD_1 src1_sel:DWORD
	v_cndmask_b32_e32 v8, v12, v8, vcc
	v_and_b32_e32 v12, 7, v8
	v_cmp_lt_i32_e32 vcc, 5, v12
	v_cmp_eq_u32_e64 s[0:1], 3, v12
	v_lshrrev_b32_e32 v8, 2, v8
	s_or_b64 vcc, s[0:1], vcc
	v_addc_co_u32_e32 v8, vcc, 0, v8, vcc
	v_cmp_gt_i32_e32 vcc, 31, v10
	s_nop 1
	v_cndmask_b32_e32 v8, v5, v8, vcc
	v_cmp_ne_u32_e32 vcc, 0, v3
	s_nop 1
	v_cndmask_b32_e64 v3, 0, 1, vcc
	v_lshl_or_b32 v3, v3, 9, v5
	v_cmp_eq_u32_e32 vcc, s8, v10
	s_nop 1
	v_cndmask_b32_e32 v3, v8, v3, vcc
	v_cvt_f64_f32_e32 v[8:9], v0
	v_mul_f64 v[8:9], v[8:9], s[2:3]
	v_and_or_b32 v0, v9, s6, v8
	v_cmp_ne_u32_e32 vcc, 0, v0
	v_lshrrev_b32_e32 v8, 8, v9
	v_bfe_u32 v10, v9, 20, 11
	v_cndmask_b32_e64 v0, 0, 1, vcc
	v_and_or_b32 v0, v8, s7, v0
	v_sub_u32_e32 v12, 0x3f1, v10
	v_or_b32_e32 v8, 0x1000, v0
	v_med3_i32 v12, v12, 0, 13
	v_lshrrev_b32_e32 v13, v12, v8
	v_lshlrev_b32_e32 v12, v12, v13
	v_cmp_ne_u32_e32 vcc, v12, v8
	v_add_u32_e32 v10, 0xfffffc10, v10
	v_lshl_or_b32 v12, v10, 12, v0
	v_cndmask_b32_e64 v8, 0, 1, vcc
	v_or_b32_e32 v8, v13, v8
	v_cmp_gt_i32_e32 vcc, 1, v10
	v_bitop3_b32 v3, v4, s10, v3 bitop3:0xc8
	v_lshrrev_b32_e32 v4, 16, v11
	v_cndmask_b32_e32 v8, v12, v8, vcc
	v_and_b32_e32 v12, 7, v8
	v_cmp_lt_i32_e32 vcc, 5, v12
	v_cmp_eq_u32_e64 s[0:1], 3, v12
	v_lshrrev_b32_e32 v8, 2, v8
	s_or_b64 vcc, s[0:1], vcc
	v_addc_co_u32_e32 v8, vcc, 0, v8, vcc
	v_cmp_gt_i32_e32 vcc, 31, v10
	s_nop 1
	v_cndmask_b32_e32 v8, v5, v8, vcc
	v_cmp_ne_u32_e32 vcc, 0, v0
	s_nop 1
	v_cndmask_b32_e64 v0, 0, 1, vcc
	v_lshl_or_b32 v0, v0, 9, v5
	v_cmp_eq_u32_e32 vcc, s8, v10
	s_nop 1
	v_cndmask_b32_e32 v0, v8, v0, vcc
	v_lshrrev_b32_e32 v8, 16, v9
	v_and_or_b32 v0, v8, s9, v0
	v_lshl_or_b32 v0, v0, 16, v3
	v_mul_f16_sdwa v3, v27, v4 dst_sel:DWORD dst_unused:UNUSED_PAD src0_sel:WORD_1 src1_sel:DWORD
	v_fma_f16 v3, v27, v11, v3
	v_cvt_f32_f16_e32 v8, v3
	v_mad_u64_u32 v[2:3], s[0:1], s4, v2, v[6:7]
	v_add_u32_e32 v3, s5, v3
	v_cvt_f64_f32_e32 v[6:7], v8
	v_mul_f64 v[6:7], v[6:7], s[2:3]
	global_store_dword v[2:3], v0, off
	v_and_or_b32 v0, v7, s6, v6
	v_cmp_ne_u32_e32 vcc, 0, v0
	v_lshrrev_b32_e32 v6, 8, v7
	v_bfe_u32 v8, v7, 20, 11
	v_cndmask_b32_e64 v0, 0, 1, vcc
	v_and_or_b32 v0, v6, s7, v0
	v_sub_u32_e32 v9, 0x3f1, v8
	v_or_b32_e32 v6, 0x1000, v0
	v_med3_i32 v9, v9, 0, 13
	v_lshrrev_b32_e32 v10, v9, v6
	v_lshlrev_b32_e32 v9, v9, v10
	v_cmp_ne_u32_e32 vcc, v9, v6
	v_add_u32_e32 v8, 0xfffffc10, v8
	v_lshl_or_b32 v9, v8, 12, v0
	v_cndmask_b32_e64 v6, 0, 1, vcc
	v_or_b32_e32 v6, v10, v6
	v_cmp_gt_i32_e32 vcc, 1, v8
	s_nop 1
	v_cndmask_b32_e32 v6, v9, v6, vcc
	v_and_b32_e32 v9, 7, v6
	v_cmp_lt_i32_e32 vcc, 5, v9
	v_cmp_eq_u32_e64 s[0:1], 3, v9
	v_lshrrev_b32_e32 v6, 2, v6
	s_or_b64 vcc, s[0:1], vcc
	v_mul_f16_sdwa v9, v27, v11 dst_sel:DWORD dst_unused:UNUSED_PAD src0_sel:WORD_1 src1_sel:DWORD
	v_addc_co_u32_e32 v6, vcc, 0, v6, vcc
	v_fma_f16 v4, v27, v4, -v9
	v_cmp_gt_i32_e32 vcc, 31, v8
	v_cvt_f32_f16_e32 v4, v4
	s_nop 0
	v_cndmask_b32_e32 v6, v5, v6, vcc
	v_cmp_ne_u32_e32 vcc, 0, v0
	s_nop 1
	v_cndmask_b32_e64 v0, 0, 1, vcc
	v_lshl_or_b32 v0, v0, 9, v5
	v_cmp_eq_u32_e32 vcc, s8, v8
	v_and_b32_sdwa v8, v7, s9 dst_sel:DWORD dst_unused:UNUSED_PAD src0_sel:WORD_1 src1_sel:DWORD
	s_nop 0
	v_cndmask_b32_e32 v0, v6, v0, vcc
	v_cvt_f64_f32_e32 v[6:7], v4
	v_mul_f64 v[6:7], v[6:7], s[2:3]
	v_and_or_b32 v4, v7, s6, v6
	v_cmp_ne_u32_e32 vcc, 0, v4
	v_lshrrev_b32_e32 v6, 8, v7
	v_bfe_u32 v9, v7, 20, 11
	v_cndmask_b32_e64 v4, 0, 1, vcc
	v_and_or_b32 v4, v6, s7, v4
	v_sub_u32_e32 v10, 0x3f1, v9
	v_or_b32_e32 v6, 0x1000, v4
	v_med3_i32 v10, v10, 0, 13
	v_lshrrev_b32_e32 v11, v10, v6
	v_lshlrev_b32_e32 v10, v10, v11
	v_cmp_ne_u32_e32 vcc, v10, v6
	v_add_u32_e32 v9, 0xfffffc10, v9
	v_lshl_or_b32 v10, v9, 12, v4
	v_cndmask_b32_e64 v6, 0, 1, vcc
	v_or_b32_e32 v6, v11, v6
	v_cmp_gt_i32_e32 vcc, 1, v9
	v_bitop3_b32 v0, v8, s10, v0 bitop3:0xc8
	s_nop 0
	v_cndmask_b32_e32 v6, v10, v6, vcc
	v_and_b32_e32 v10, 7, v6
	v_cmp_lt_i32_e32 vcc, 5, v10
	v_cmp_eq_u32_e64 s[0:1], 3, v10
	v_lshrrev_b32_e32 v6, 2, v6
	s_or_b64 vcc, s[0:1], vcc
	v_addc_co_u32_e32 v6, vcc, 0, v6, vcc
	v_cmp_gt_i32_e32 vcc, 31, v9
	s_nop 1
	v_cndmask_b32_e32 v6, v5, v6, vcc
	v_cmp_ne_u32_e32 vcc, 0, v4
	s_nop 1
	v_cndmask_b32_e64 v4, 0, 1, vcc
	v_lshl_or_b32 v4, v4, 9, v5
	v_cmp_eq_u32_e32 vcc, s8, v9
	v_lshrrev_b32_e32 v5, 16, v7
	s_nop 0
	v_cndmask_b32_e32 v4, v6, v4, vcc
	v_and_or_b32 v4, v5, s9, v4
	v_lshl_or_b32 v4, v4, 16, v0
	v_mad_u64_u32 v[0:1], s[0:1], s4, v1, v[2:3]
	v_add_u32_e32 v1, s11, v1
	global_store_dword v[0:1], v4, off
.LBB0_10:
	s_endpgm
	.section	.rodata,"a",@progbits
	.p2align	6, 0x0
	.amdhsa_kernel bluestein_single_fwd_len1100_dim1_half_op_CI_CI
		.amdhsa_group_segment_fixed_size 4400
		.amdhsa_private_segment_fixed_size 0
		.amdhsa_kernarg_size 104
		.amdhsa_user_sgpr_count 2
		.amdhsa_user_sgpr_dispatch_ptr 0
		.amdhsa_user_sgpr_queue_ptr 0
		.amdhsa_user_sgpr_kernarg_segment_ptr 1
		.amdhsa_user_sgpr_dispatch_id 0
		.amdhsa_user_sgpr_kernarg_preload_length 0
		.amdhsa_user_sgpr_kernarg_preload_offset 0
		.amdhsa_user_sgpr_private_segment_size 0
		.amdhsa_uses_dynamic_stack 0
		.amdhsa_enable_private_segment 0
		.amdhsa_system_sgpr_workgroup_id_x 1
		.amdhsa_system_sgpr_workgroup_id_y 0
		.amdhsa_system_sgpr_workgroup_id_z 0
		.amdhsa_system_sgpr_workgroup_info 0
		.amdhsa_system_vgpr_workitem_id 0
		.amdhsa_next_free_vgpr 136
		.amdhsa_next_free_sgpr 27
		.amdhsa_accum_offset 136
		.amdhsa_reserve_vcc 1
		.amdhsa_float_round_mode_32 0
		.amdhsa_float_round_mode_16_64 0
		.amdhsa_float_denorm_mode_32 3
		.amdhsa_float_denorm_mode_16_64 3
		.amdhsa_dx10_clamp 1
		.amdhsa_ieee_mode 1
		.amdhsa_fp16_overflow 0
		.amdhsa_tg_split 0
		.amdhsa_exception_fp_ieee_invalid_op 0
		.amdhsa_exception_fp_denorm_src 0
		.amdhsa_exception_fp_ieee_div_zero 0
		.amdhsa_exception_fp_ieee_overflow 0
		.amdhsa_exception_fp_ieee_underflow 0
		.amdhsa_exception_fp_ieee_inexact 0
		.amdhsa_exception_int_div_zero 0
	.end_amdhsa_kernel
	.text
.Lfunc_end0:
	.size	bluestein_single_fwd_len1100_dim1_half_op_CI_CI, .Lfunc_end0-bluestein_single_fwd_len1100_dim1_half_op_CI_CI
                                        ; -- End function
	.section	.AMDGPU.csdata,"",@progbits
; Kernel info:
; codeLenInByte = 18624
; NumSgprs: 33
; NumVgprs: 136
; NumAgprs: 0
; TotalNumVgprs: 136
; ScratchSize: 0
; MemoryBound: 0
; FloatMode: 240
; IeeeMode: 1
; LDSByteSize: 4400 bytes/workgroup (compile time only)
; SGPRBlocks: 4
; VGPRBlocks: 16
; NumSGPRsForWavesPerEU: 33
; NumVGPRsForWavesPerEU: 136
; AccumOffset: 136
; Occupancy: 3
; WaveLimiterHint : 1
; COMPUTE_PGM_RSRC2:SCRATCH_EN: 0
; COMPUTE_PGM_RSRC2:USER_SGPR: 2
; COMPUTE_PGM_RSRC2:TRAP_HANDLER: 0
; COMPUTE_PGM_RSRC2:TGID_X_EN: 1
; COMPUTE_PGM_RSRC2:TGID_Y_EN: 0
; COMPUTE_PGM_RSRC2:TGID_Z_EN: 0
; COMPUTE_PGM_RSRC2:TIDIG_COMP_CNT: 0
; COMPUTE_PGM_RSRC3_GFX90A:ACCUM_OFFSET: 33
; COMPUTE_PGM_RSRC3_GFX90A:TG_SPLIT: 0
	.text
	.p2alignl 6, 3212836864
	.fill 256, 4, 3212836864
	.type	__hip_cuid_b2fdf8408d668e1e,@object ; @__hip_cuid_b2fdf8408d668e1e
	.section	.bss,"aw",@nobits
	.globl	__hip_cuid_b2fdf8408d668e1e
__hip_cuid_b2fdf8408d668e1e:
	.byte	0                               ; 0x0
	.size	__hip_cuid_b2fdf8408d668e1e, 1

	.ident	"AMD clang version 19.0.0git (https://github.com/RadeonOpenCompute/llvm-project roc-6.4.0 25133 c7fe45cf4b819c5991fe208aaa96edf142730f1d)"
	.section	".note.GNU-stack","",@progbits
	.addrsig
	.addrsig_sym __hip_cuid_b2fdf8408d668e1e
	.amdgpu_metadata
---
amdhsa.kernels:
  - .agpr_count:     0
    .args:
      - .actual_access:  read_only
        .address_space:  global
        .offset:         0
        .size:           8
        .value_kind:     global_buffer
      - .actual_access:  read_only
        .address_space:  global
        .offset:         8
        .size:           8
        .value_kind:     global_buffer
      - .actual_access:  read_only
        .address_space:  global
        .offset:         16
        .size:           8
        .value_kind:     global_buffer
      - .actual_access:  read_only
        .address_space:  global
        .offset:         24
        .size:           8
        .value_kind:     global_buffer
      - .actual_access:  read_only
        .address_space:  global
        .offset:         32
        .size:           8
        .value_kind:     global_buffer
      - .offset:         40
        .size:           8
        .value_kind:     by_value
      - .address_space:  global
        .offset:         48
        .size:           8
        .value_kind:     global_buffer
      - .address_space:  global
        .offset:         56
        .size:           8
        .value_kind:     global_buffer
      - .address_space:  global
        .offset:         64
        .size:           8
        .value_kind:     global_buffer
      - .address_space:  global
        .offset:         72
        .size:           8
        .value_kind:     global_buffer
      - .offset:         80
        .size:           4
        .value_kind:     by_value
      - .address_space:  global
        .offset:         88
        .size:           8
        .value_kind:     global_buffer
      - .address_space:  global
        .offset:         96
        .size:           8
        .value_kind:     global_buffer
    .group_segment_fixed_size: 4400
    .kernarg_segment_align: 8
    .kernarg_segment_size: 104
    .language:       OpenCL C
    .language_version:
      - 2
      - 0
    .max_flat_workgroup_size: 110
    .name:           bluestein_single_fwd_len1100_dim1_half_op_CI_CI
    .private_segment_fixed_size: 0
    .sgpr_count:     33
    .sgpr_spill_count: 0
    .symbol:         bluestein_single_fwd_len1100_dim1_half_op_CI_CI.kd
    .uniform_work_group_size: 1
    .uses_dynamic_stack: false
    .vgpr_count:     136
    .vgpr_spill_count: 0
    .wavefront_size: 64
amdhsa.target:   amdgcn-amd-amdhsa--gfx950
amdhsa.version:
  - 1
  - 2
...

	.end_amdgpu_metadata
